;; amdgpu-corpus repo=pytorch/pytorch kind=compiled arch=gfx90a opt=O3
	.text
	.amdgcn_target "amdgcn-amd-amdhsa--gfx90a"
	.amdhsa_code_object_version 6
	.p2align	2                               ; -- Begin function _ZN2at6native25elementwise_kernel_helperILb0EZZZNS0_12_GLOBAL__N_119airy_ai_kernel_cudaERNS_18TensorIteratorBaseEENKUlvE_clEvENKUlvE_clEvEUldE_NS0_6memory8policies11unroll_baseILi256ESt5arrayIPcLm2EE23TrivialOffsetCalculatorILi1EjESF_NS8_15LoadWithoutCastENS8_16StoreWithoutCastELi4ELi1EEEEEvT0_T1_
	.type	_ZN2at6native25elementwise_kernel_helperILb0EZZZNS0_12_GLOBAL__N_119airy_ai_kernel_cudaERNS_18TensorIteratorBaseEENKUlvE_clEvENKUlvE_clEvEUldE_NS0_6memory8policies11unroll_baseILi256ESt5arrayIPcLm2EE23TrivialOffsetCalculatorILi1EjESF_NS8_15LoadWithoutCastENS8_16StoreWithoutCastELi4ELi1EEEEEvT0_T1_,@function
_ZN2at6native25elementwise_kernel_helperILb0EZZZNS0_12_GLOBAL__N_119airy_ai_kernel_cudaERNS_18TensorIteratorBaseEENKUlvE_clEvENKUlvE_clEvEUldE_NS0_6memory8policies11unroll_baseILi256ESt5arrayIPcLm2EE23TrivialOffsetCalculatorILi1EjESF_NS8_15LoadWithoutCastENS8_16StoreWithoutCastELi4ELi1EEEEEvT0_T1_: ; @_ZN2at6native25elementwise_kernel_helperILb0EZZZNS0_12_GLOBAL__N_119airy_ai_kernel_cudaERNS_18TensorIteratorBaseEENKUlvE_clEvENKUlvE_clEvEUldE_NS0_6memory8policies11unroll_baseILi256ESt5arrayIPcLm2EE23TrivialOffsetCalculatorILi1EjESF_NS8_15LoadWithoutCastENS8_16StoreWithoutCastELi4ELi1EEEEEvT0_T1_
; %bb.0:
	s_waitcnt vmcnt(0) expcnt(0) lgkmcnt(0)
	s_or_saveexec_b64 s[4:5], -1
	buffer_store_dword v40, off, s[0:3], s32 ; 4-byte Folded Spill
	s_mov_b64 exec, s[4:5]
	v_writelane_b32 v40, s34, 0
	v_writelane_b32 v40, s35, 1
	v_writelane_b32 v40, s36, 2
	v_writelane_b32 v40, s37, 3
	v_writelane_b32 v40, s38, 4
	v_writelane_b32 v40, s40, 5
	v_writelane_b32 v40, s41, 6
	v_writelane_b32 v40, s30, 7
	v_writelane_b32 v40, s31, 8
	v_and_b32_e32 v5, 0x3ff, v31
	s_lshl_b32 s38, s12, 10
	v_pk_mov_b32 v[20:21], 0, 0
	v_cmp_lt_i32_e64 s[4:5], v5, v4
	v_or_b32_e32 v14, s38, v5
	v_pk_mov_b32 v[22:23], v[20:21], v[20:21] op_sel:[0,1]
	v_mov_b32_e32 v6, v5
	s_and_saveexec_b64 s[6:7], s[4:5]
	s_cbranch_execz .LBB0_2
; %bb.1:
	v_mov_b32_e32 v15, 0
	v_lshlrev_b64 v[6:7], 3, v[14:15]
	v_add_co_u32_e32 v6, vcc, v2, v6
	v_addc_co_u32_e32 v7, vcc, v3, v7, vcc
	flat_load_dwordx2 v[22:23], v[6:7]
	v_add_u32_e32 v6, 0x100, v5
.LBB0_2:
	s_or_b64 exec, exec, s[6:7]
	v_cmp_lt_i32_e32 vcc, v6, v4
	s_and_saveexec_b64 s[6:7], vcc
	s_cbranch_execz .LBB0_4
; %bb.3:
	v_add_u32_e32 v8, s38, v6
	v_mov_b32_e32 v9, 0
	v_lshlrev_b64 v[8:9], 3, v[8:9]
	v_add_co_u32_e32 v8, vcc, v2, v8
	v_addc_co_u32_e32 v9, vcc, v3, v9, vcc
	flat_load_dwordx2 v[20:21], v[8:9]
	v_add_u32_e32 v6, 0x100, v6
.LBB0_4:
	s_or_b64 exec, exec, s[6:7]
	v_pk_mov_b32 v[16:17], 0, 0
	v_cmp_lt_i32_e32 vcc, v6, v4
	v_pk_mov_b32 v[18:19], v[16:17], v[16:17] op_sel:[0,1]
	s_and_saveexec_b64 s[6:7], vcc
	s_cbranch_execz .LBB0_7
; %bb.5:
	v_add_u32_e32 v8, s38, v6
	v_mov_b32_e32 v9, 0
	v_lshlrev_b64 v[8:9], 3, v[8:9]
	v_add_co_u32_e32 v8, vcc, v2, v8
	v_addc_co_u32_e32 v9, vcc, v3, v9, vcc
	flat_load_dwordx2 v[18:19], v[8:9]
	v_add_u32_e32 v6, 0x100, v6
	s_or_b64 exec, exec, s[6:7]
	v_cmp_lt_i32_e32 vcc, v6, v4
	s_and_saveexec_b64 s[6:7], vcc
	s_cbranch_execnz .LBB0_8
.LBB0_6:
	s_or_b64 exec, exec, s[6:7]
                                        ; implicit-def: $vgpr6_vgpr7_vgpr8_vgpr9_vgpr10_vgpr11_vgpr12_vgpr13
	s_and_saveexec_b64 s[8:9], s[4:5]
	s_cbranch_execnz .LBB0_9
	s_branch .LBB0_32
.LBB0_7:
	s_or_b64 exec, exec, s[6:7]
	v_cmp_lt_i32_e32 vcc, v6, v4
	s_and_saveexec_b64 s[6:7], vcc
	s_cbranch_execz .LBB0_6
.LBB0_8:
	v_add_u32_e32 v6, s38, v6
	v_mov_b32_e32 v7, 0
	v_lshlrev_b64 v[6:7], 3, v[6:7]
	v_add_co_u32_e32 v2, vcc, v2, v6
	v_addc_co_u32_e32 v3, vcc, v3, v7, vcc
	flat_load_dwordx2 v[16:17], v[2:3]
	s_or_b64 exec, exec, s[6:7]
                                        ; implicit-def: $vgpr6_vgpr7_vgpr8_vgpr9_vgpr10_vgpr11_vgpr12_vgpr13
	s_and_saveexec_b64 s[8:9], s[4:5]
	s_cbranch_execz .LBB0_32
.LBB0_9:
	s_mov_b32 s6, 0
	s_mov_b32 s7, 0x7ff00000
	v_mov_b32_e32 v6, 0
	s_waitcnt vmcnt(0) lgkmcnt(0)
	v_cmp_neq_f64_e64 s[6:7], |v[22:23]|, s[6:7]
	v_mov_b32_e32 v7, 0x7ff80000
	s_and_saveexec_b64 s[10:11], s[6:7]
	s_cbranch_execz .LBB0_31
; %bb.10:
	s_mov_b32 s6, 0x872b020c
	s_mov_b32 s7, 0x4059f916
	v_cmp_nlt_f64_e32 vcc, s[6:7], v[22:23]
	v_pk_mov_b32 v[6:7], 0, 0
	s_and_saveexec_b64 s[12:13], vcc
	s_cbranch_execz .LBB0_30
; %bb.11:
	s_mov_b32 s7, 0xc000b851
	s_mov_b32 s6, 0xeb851eb8
	v_cmp_ngt_f64_e32 vcc, s[6:7], v[22:23]
                                        ; implicit-def: $vgpr6_vgpr7
	s_and_saveexec_b64 s[14:15], vcc
	s_xor_b64 s[14:15], exec, s[14:15]
	s_cbranch_execz .LBB0_19
; %bb.12:
	s_mov_b32 s7, 0x4000b851
	v_cmp_nle_f64_e64 s[16:17], s[6:7], v[22:23]
	v_cmp_le_f64_e32 vcc, s[6:7], v[22:23]
	v_pk_mov_b32 v[6:7], 0, 0
	s_mov_b64 s[6:7], s[16:17]
	s_and_saveexec_b64 s[18:19], vcc
	s_cbranch_execz .LBB0_14
; %bb.13:
	s_mov_b32 s6, 0
	s_brev_b32 s7, 8
	v_cmp_gt_f64_e32 vcc, s[6:7], v[22:23]
	v_cndmask_b32_e64 v2, 0, 1, vcc
	v_lshlrev_b32_e32 v2, 8, v2
	v_ldexp_f64 v[2:3], v[22:23], v2
	v_rsq_f64_e32 v[6:7], v[2:3]
	v_mov_b32_e32 v15, 0xffffff80
	v_mov_b32_e32 v30, 0x260
	v_add_f64 v[8:9], v[22:23], v[22:23]
	v_mul_f64 v[10:11], v[2:3], v[6:7]
	v_mul_f64 v[6:7], v[6:7], 0.5
	v_fma_f64 v[12:13], -v[6:7], v[10:11], 0.5
	v_fmac_f64_e32 v[10:11], v[10:11], v[12:13]
	v_fma_f64 v[24:25], -v[10:11], v[10:11], v[2:3]
	v_fmac_f64_e32 v[6:7], v[6:7], v[12:13]
	v_fmac_f64_e32 v[10:11], v[24:25], v[6:7]
	v_fma_f64 v[12:13], -v[10:11], v[10:11], v[2:3]
	v_fmac_f64_e32 v[10:11], v[12:13], v[6:7]
	v_cndmask_b32_e32 v6, 0, v15, vcc
	v_ldexp_f64 v[6:7], v[10:11], v6
	v_cmp_class_f64_e32 vcc, v[2:3], v30
	v_cndmask_b32_e32 v3, v7, v3, vcc
	v_cndmask_b32_e32 v2, v6, v2, vcc
	s_mov_b32 s20, 0
	v_mul_f64 v[6:7], v[8:9], v[2:3]
	s_mov_b32 s21, 0x40080000
	v_div_scale_f64 v[8:9], s[22:23], s[20:21], s[20:21], v[6:7]
	v_rcp_f64_e32 v[10:11], v[8:9]
	v_fma_f64 v[12:13], -v[8:9], v[10:11], 1.0
	v_fmac_f64_e32 v[10:11], v[10:11], v[12:13]
	v_fma_f64 v[12:13], -v[8:9], v[10:11], 1.0
	v_fmac_f64_e32 v[10:11], v[10:11], v[12:13]
	v_div_scale_f64 v[12:13], vcc, v[6:7], s[20:21], v[6:7]
	v_mul_f64 v[24:25], v[12:13], v[10:11]
	v_fma_f64 v[8:9], -v[8:9], v[24:25], v[12:13]
	s_nop 1
	v_div_fmas_f64 v[8:9], v[8:9], v[10:11], v[24:25]
	v_div_fixup_f64 v[6:7], v[8:9], s[20:21], v[6:7]
	v_div_scale_f64 v[8:9], s[20:21], v[6:7], v[6:7], 1.0
	v_rcp_f64_e32 v[10:11], v[8:9]
	v_fma_f64 v[12:13], -v[8:9], v[10:11], 1.0
	v_fmac_f64_e32 v[10:11], v[10:11], v[12:13]
	v_fma_f64 v[12:13], -v[8:9], v[10:11], 1.0
	v_fmac_f64_e32 v[10:11], v[10:11], v[12:13]
	v_div_scale_f64 v[12:13], vcc, 1.0, v[6:7], 1.0
	v_mul_f64 v[24:25], v[12:13], v[10:11]
	v_fma_f64 v[8:9], -v[8:9], v[24:25], v[12:13]
	v_mov_b32_e32 v12, 0x871a9067
	s_nop 0
	v_div_fmas_f64 v[8:9], v[8:9], v[10:11], v[24:25]
	v_div_fixup_f64 v[8:9], v[8:9], v[6:7], 1.0
	v_mov_b32_e32 v10, 0x2537b658
	v_mov_b32_e32 v11, 0x3fd62dae
	v_fmac_f64_e32 v[10:11], 0, v[8:9]
	v_mov_b32_e32 v13, 0x402803e3
	v_fmac_f64_e32 v[12:13], v[8:9], v[10:11]
	v_mov_b32_e32 v10, 0xde2e1e3
	v_mov_b32_e32 v11, 0x405311e5
	v_fmac_f64_e32 v[10:11], v[8:9], v[12:13]
	v_mov_b32_e32 v12, 0xee40073c
	;; [unrolled: 3-line block ×12, first 2 shown]
	v_mov_b32_e32 v13, 0x402c311b
	v_fmac_f64_e32 v[12:13], v[8:9], v[24:25]
	v_fma_f64 v[12:13], v[8:9], v[12:13], 1.0
	v_fma_f64 v[8:9], v[8:9], v[10:11], 1.0
	v_div_scale_f64 v[10:11], s[20:21], v[12:13], v[12:13], v[8:9]
	v_rcp_f64_e32 v[24:25], v[10:11]
	v_fma_f64 v[26:27], -v[10:11], v[24:25], 1.0
	v_fmac_f64_e32 v[24:25], v[24:25], v[26:27]
	v_fma_f64 v[26:27], -v[10:11], v[24:25], 1.0
	v_fmac_f64_e32 v[24:25], v[24:25], v[26:27]
	v_div_scale_f64 v[26:27], vcc, v[8:9], v[12:13], v[8:9]
	v_mul_f64 v[28:29], v[26:27], v[24:25]
	v_fma_f64 v[10:11], -v[10:11], v[28:29], v[26:27]
	s_nop 1
	v_div_fmas_f64 v[10:11], v[10:11], v[24:25], v[28:29]
	v_cmp_gt_f64_e32 vcc, s[6:7], v[2:3]
	v_div_fixup_f64 v[8:9], v[10:11], v[12:13], v[8:9]
	v_cndmask_b32_e64 v10, 0, 1, vcc
	v_lshlrev_b32_e32 v10, 8, v10
	v_ldexp_f64 v[2:3], v[2:3], v10
	v_rsq_f64_e32 v[10:11], v[2:3]
	s_mov_b32 s6, 0x50429b6d
	s_mov_b32 s7, 0x3fe20dd7
	v_mul_f64 v[8:9], v[8:9], s[6:7]
	v_mul_f64 v[12:13], v[2:3], v[10:11]
	v_mul_f64 v[10:11], v[10:11], 0.5
	v_fma_f64 v[24:25], -v[10:11], v[12:13], 0.5
	v_fmac_f64_e32 v[12:13], v[12:13], v[24:25]
	v_fma_f64 v[26:27], -v[12:13], v[12:13], v[2:3]
	v_fmac_f64_e32 v[10:11], v[10:11], v[24:25]
	v_fmac_f64_e32 v[12:13], v[26:27], v[10:11]
	v_fma_f64 v[24:25], -v[12:13], v[12:13], v[2:3]
	v_fmac_f64_e32 v[12:13], v[24:25], v[10:11]
	v_cndmask_b32_e32 v10, 0, v15, vcc
	s_mov_b32 s6, 0x652b82fe
	v_ldexp_f64 v[10:11], v[12:13], v10
	v_cmp_class_f64_e32 vcc, v[2:3], v30
	s_mov_b32 s7, 0x3ff71547
	v_cndmask_b32_e32 v3, v11, v3, vcc
	v_cndmask_b32_e32 v2, v10, v2, vcc
	v_mul_f64 v[10:11], v[6:7], s[6:7]
	s_mov_b32 s6, 0xfefa39ef
	v_rndne_f64_e32 v[10:11], v[10:11]
	s_mov_b32 s7, 0xbfe62e42
	v_fma_f64 v[12:13], s[6:7], v[10:11], v[6:7]
	s_mov_b32 s6, 0x3b39803f
	s_mov_b32 s7, 0xbc7abc9e
	v_fmac_f64_e32 v[12:13], s[6:7], v[10:11]
	s_mov_b32 s6, 0x6a5dcb37
	v_mov_b32_e32 v24, 0xfca7ab0c
	v_mov_b32_e32 v25, 0x3e928af3
	s_mov_b32 s7, 0x3e5ade15
	v_fmac_f64_e32 v[24:25], s[6:7], v[12:13]
	v_mov_b32_e32 v26, 0x623fde64
	v_mov_b32_e32 v27, 0x3ec71dee
	v_fmac_f64_e32 v[26:27], v[12:13], v[24:25]
	v_mov_b32_e32 v24, 0x7c89e6b0
	v_mov_b32_e32 v25, 0x3efa0199
	;; [unrolled: 3-line block ×8, first 2 shown]
	s_mov_b32 s6, 0
	v_fmac_f64_e32 v[24:25], v[12:13], v[26:27]
	s_mov_b32 s7, 0x40900000
	v_fma_f64 v[24:25], v[12:13], v[24:25], 1.0
	v_cmp_nlt_f64_e32 vcc, s[6:7], v[6:7]
	s_mov_b32 s6, 0
	v_fma_f64 v[12:13], v[12:13], v[24:25], 1.0
	v_cvt_i32_f64_e32 v10, v[10:11]
	s_mov_b32 s7, 0xc090cc00
	v_ldexp_f64 v[10:11], v[12:13], v10
	v_mov_b32_e32 v12, 0x7ff00000
	v_cmp_ngt_f64_e64 s[6:7], s[6:7], v[6:7]
	v_cndmask_b32_e32 v11, v12, v11, vcc
	s_and_b64 vcc, s[6:7], vcc
	v_add_f64 v[2:3], v[2:3], v[2:3]
	v_cndmask_b32_e64 v7, 0, v11, s[6:7]
	v_cndmask_b32_e32 v6, 0, v10, vcc
	v_mul_f64 v[2:3], v[2:3], v[6:7]
	v_div_scale_f64 v[6:7], s[6:7], v[2:3], v[2:3], v[8:9]
	v_rcp_f64_e32 v[10:11], v[6:7]
	s_mov_b32 s6, 0xfd0a823a
	s_mov_b32 s7, 0x4020a402
	v_fma_f64 v[12:13], -v[6:7], v[10:11], 1.0
	v_fmac_f64_e32 v[10:11], v[10:11], v[12:13]
	v_fma_f64 v[12:13], -v[6:7], v[10:11], 1.0
	v_fmac_f64_e32 v[10:11], v[10:11], v[12:13]
	v_div_scale_f64 v[12:13], vcc, v[8:9], v[2:3], v[8:9]
	v_mul_f64 v[24:25], v[12:13], v[10:11]
	v_fma_f64 v[6:7], -v[6:7], v[24:25], v[12:13]
	s_nop 1
	v_div_fmas_f64 v[6:7], v[6:7], v[10:11], v[24:25]
	v_cmp_nlt_f64_e32 vcc, s[6:7], v[22:23]
	s_andn2_b64 s[6:7], s[16:17], exec
	s_and_b64 s[20:21], vcc, exec
	v_div_fixup_f64 v[6:7], v[6:7], v[2:3], v[8:9]
	s_or_b64 s[6:7], s[6:7], s[20:21]
.LBB0_14:
	s_or_b64 exec, exec, s[18:19]
	s_and_saveexec_b64 s[18:19], s[6:7]
	s_cbranch_execz .LBB0_18
; %bb.15:
	v_mov_b32_e32 v24, 0
	v_mul_f64 v[2:3], v[22:23], v[22:23]
	v_mov_b32_e32 v25, 0x3ff00000
	s_mov_b32 s22, 0
	v_mul_f64 v[8:9], v[22:23], v[2:3]
	s_mov_b64 s[20:21], 0
	s_mov_b32 s23, 0x3cb00000
	v_pk_mov_b32 v[12:13], v[24:25], v[24:25] op_sel:[0,1]
	v_pk_mov_b32 v[10:11], v[22:23], v[22:23] op_sel:[0,1]
	;; [unrolled: 1-line block ×3, first 2 shown]
.LBB0_16:                               ; =>This Inner Loop Header: Depth=1
	v_mul_f64 v[24:25], v[8:9], v[24:25]
	v_add_f64 v[26:27], v[12:13], 1.0
	v_mul_f64 v[22:23], v[8:9], v[22:23]
	v_div_scale_f64 v[28:29], s[6:7], v[26:27], v[26:27], v[24:25]
	v_add_f64 v[32:33], v[26:27], 1.0
	v_rcp_f64_e32 v[34:35], v[28:29]
	v_div_scale_f64 v[36:37], s[6:7], v[32:33], v[32:33], v[22:23]
	v_rcp_f64_e32 v[48:49], v[36:37]
	v_fma_f64 v[50:51], -v[28:29], v[34:35], 1.0
	v_fmac_f64_e32 v[34:35], v[34:35], v[50:51]
	v_fma_f64 v[52:53], -v[28:29], v[34:35], 1.0
	v_fma_f64 v[50:51], -v[36:37], v[48:49], 1.0
	v_fmac_f64_e32 v[48:49], v[48:49], v[50:51]
	v_div_scale_f64 v[30:31], vcc, v[24:25], v[26:27], v[24:25]
	v_fmac_f64_e32 v[34:35], v[34:35], v[52:53]
	v_fma_f64 v[50:51], -v[36:37], v[48:49], 1.0
	v_div_scale_f64 v[38:39], s[6:7], v[22:23], v[32:33], v[22:23]
	v_mul_f64 v[52:53], v[30:31], v[34:35]
	v_fmac_f64_e32 v[48:49], v[48:49], v[50:51]
	v_fma_f64 v[28:29], -v[28:29], v[52:53], v[30:31]
	v_mul_f64 v[30:31], v[38:39], v[48:49]
	v_div_fmas_f64 v[28:29], v[28:29], v[34:35], v[52:53]
	v_fma_f64 v[34:35], -v[36:37], v[30:31], v[38:39]
	s_mov_b64 vcc, s[6:7]
	v_div_fixup_f64 v[24:25], v[28:29], v[26:27], v[24:25]
	v_div_fmas_f64 v[26:27], v[34:35], v[48:49], v[30:31]
	v_div_fixup_f64 v[22:23], v[26:27], v[32:33], v[22:23]
	v_div_scale_f64 v[26:27], s[6:7], v[32:33], v[32:33], v[24:25]
	v_add_f64 v[12:13], v[32:33], 1.0
	v_rcp_f64_e32 v[30:31], v[26:27]
	v_div_scale_f64 v[34:35], s[6:7], v[12:13], v[12:13], v[22:23]
	v_rcp_f64_e32 v[38:39], v[34:35]
	v_fma_f64 v[48:49], -v[26:27], v[30:31], 1.0
	v_fmac_f64_e32 v[30:31], v[30:31], v[48:49]
	v_fma_f64 v[50:51], -v[26:27], v[30:31], 1.0
	v_fma_f64 v[48:49], -v[34:35], v[38:39], 1.0
	v_div_scale_f64 v[28:29], vcc, v[24:25], v[32:33], v[24:25]
	v_fmac_f64_e32 v[38:39], v[38:39], v[48:49]
	v_fmac_f64_e32 v[30:31], v[30:31], v[50:51]
	v_fma_f64 v[48:49], -v[34:35], v[38:39], 1.0
	v_mul_f64 v[50:51], v[28:29], v[30:31]
	v_div_scale_f64 v[36:37], s[6:7], v[22:23], v[12:13], v[22:23]
	v_fmac_f64_e32 v[38:39], v[38:39], v[48:49]
	v_fma_f64 v[26:27], -v[26:27], v[50:51], v[28:29]
	v_mul_f64 v[28:29], v[36:37], v[38:39]
	v_div_fmas_f64 v[26:27], v[26:27], v[30:31], v[50:51]
	v_fma_f64 v[30:31], -v[34:35], v[28:29], v[36:37]
	v_div_fixup_f64 v[24:25], v[26:27], v[32:33], v[24:25]
	s_mov_b64 vcc, s[6:7]
	v_div_fmas_f64 v[26:27], v[30:31], v[38:39], v[28:29]
	v_add_f64 v[2:3], v[2:3], v[24:25]
	v_div_fixup_f64 v[22:23], v[26:27], v[12:13], v[22:23]
	v_div_scale_f64 v[26:27], s[6:7], v[2:3], v[2:3], v[24:25]
	v_rcp_f64_e32 v[28:29], v[26:27]
	v_div_scale_f64 v[30:31], vcc, v[24:25], v[2:3], v[24:25]
	v_add_f64 v[10:11], v[10:11], v[22:23]
	v_fma_f64 v[32:33], -v[26:27], v[28:29], 1.0
	v_fmac_f64_e32 v[28:29], v[28:29], v[32:33]
	v_fma_f64 v[32:33], -v[26:27], v[28:29], 1.0
	v_fmac_f64_e32 v[28:29], v[28:29], v[32:33]
	v_mul_f64 v[32:33], v[30:31], v[28:29]
	v_fma_f64 v[26:27], -v[26:27], v[32:33], v[30:31]
	v_div_fmas_f64 v[26:27], v[26:27], v[28:29], v[32:33]
	v_div_fixup_f64 v[26:27], v[26:27], v[2:3], v[24:25]
	v_cmp_ngt_f64_e64 s[6:7], |v[26:27]|, s[22:23]
	s_or_b64 s[20:21], s[6:7], s[20:21]
	s_andn2_b64 exec, exec, s[20:21]
	s_cbranch_execnz .LBB0_16
; %bb.17:
	s_or_b64 exec, exec, s[20:21]
	s_mov_b32 s6, 0x42b70f8b
	s_mov_b32 s7, 0xbfd0907f
	v_mul_f64 v[8:9], v[10:11], s[6:7]
	s_mov_b32 s6, 0x962715b8
	s_mov_b32 s7, 0x3fd6b8c7
	v_fmac_f64_e32 v[8:9], s[6:7], v[2:3]
	v_cndmask_b32_e64 v7, v7, v9, s[16:17]
	v_cndmask_b32_e64 v6, v6, v8, s[16:17]
.LBB0_18:
	s_or_b64 exec, exec, s[18:19]
                                        ; implicit-def: $vgpr22_vgpr23
.LBB0_19:
	s_andn2_saveexec_b64 s[14:15], s[14:15]
	s_cbranch_execz .LBB0_29
; %bb.20:
	s_mov_b32 s6, 0
	s_brev_b32 s7, 9
	v_cmp_lt_f64_e32 vcc, s[6:7], v[22:23]
	v_cndmask_b32_e64 v2, 0, 1, vcc
	v_lshlrev_b32_e32 v2, 8, v2
	v_ldexp_f64 v[2:3], -v[22:23], v2
	v_rsq_f64_e32 v[6:7], v[2:3]
	v_mul_f64 v[8:9], v[22:23], -2.0
	s_mov_b32 s16, 0
	s_mov_b32 s17, 0x40080000
	v_mul_f64 v[10:11], v[2:3], v[6:7]
	v_mul_f64 v[6:7], v[6:7], 0.5
	v_fma_f64 v[12:13], -v[6:7], v[10:11], 0.5
	v_fmac_f64_e32 v[10:11], v[10:11], v[12:13]
	v_fma_f64 v[22:23], -v[10:11], v[10:11], v[2:3]
	v_fmac_f64_e32 v[6:7], v[6:7], v[12:13]
	v_fmac_f64_e32 v[10:11], v[22:23], v[6:7]
	v_fma_f64 v[12:13], -v[10:11], v[10:11], v[2:3]
	v_fmac_f64_e32 v[10:11], v[12:13], v[6:7]
	v_mov_b32_e32 v6, 0xffffff80
	v_cndmask_b32_e32 v6, 0, v6, vcc
	v_ldexp_f64 v[6:7], v[10:11], v6
	v_mov_b32_e32 v10, 0x260
	v_cmp_class_f64_e32 vcc, v[2:3], v10
	v_cndmask_b32_e32 v3, v7, v3, vcc
	v_cndmask_b32_e32 v2, v6, v2, vcc
	v_mul_f64 v[6:7], v[8:9], v[2:3]
	v_div_scale_f64 v[8:9], s[6:7], s[16:17], s[16:17], v[6:7]
	v_rcp_f64_e32 v[10:11], v[8:9]
	s_mov_b32 s19, 0x3fe921fb
	s_mov_b32 s18, 0x54442d18
	s_movk_i32 s6, 0xff80
	v_fma_f64 v[12:13], -v[8:9], v[10:11], 1.0
	v_fmac_f64_e32 v[10:11], v[10:11], v[12:13]
	v_fma_f64 v[12:13], -v[8:9], v[10:11], 1.0
	v_fmac_f64_e32 v[10:11], v[10:11], v[12:13]
	v_div_scale_f64 v[12:13], vcc, v[6:7], s[16:17], v[6:7]
	v_mul_f64 v[22:23], v[12:13], v[10:11]
	v_fma_f64 v[8:9], -v[8:9], v[22:23], v[12:13]
                                        ; implicit-def: $vgpr32
                                        ; implicit-def: $vgpr24_vgpr25
	s_nop 1
	v_div_fmas_f64 v[8:9], v[8:9], v[10:11], v[22:23]
	v_div_fixup_f64 v[12:13], v[8:9], s[16:17], v[6:7]
	s_mov_b32 s16, 0
	v_add_f64 v[6:7], v[12:13], s[18:19]
	s_mov_b32 s17, 0x41d00000
	v_cmp_nlt_f64_e64 s[16:17], |v[6:7]|, s[16:17]
	v_trig_preop_f64 v[30:31], |v[6:7]|, 0
	v_trig_preop_f64 v[28:29], |v[6:7]|, 1
	;; [unrolled: 1-line block ×3, first 2 shown]
                                        ; implicit-def: $vgpr22_vgpr23
	s_and_saveexec_b64 s[20:21], s[16:17]
	s_xor_b64 s[20:21], exec, s[20:21]
	s_cbranch_execz .LBB0_22
; %bb.21:
	s_mov_b32 s22, 0
	s_mov_b32 s23, 0x7b000000
	v_and_b32_e32 v10, 0x7fffffff, v7
	v_ldexp_f64 v[8:9], |v[6:7]|, s6
	v_cmp_ge_f64_e64 vcc, |v[6:7]|, s[22:23]
	v_cndmask_b32_e32 v9, v10, v9, vcc
	v_cndmask_b32_e32 v8, v6, v8, vcc
	v_mul_f64 v[22:23], v[30:31], v[8:9]
	v_mul_f64 v[10:11], v[28:29], v[8:9]
	v_fma_f64 v[24:25], v[30:31], v[8:9], -v[22:23]
	v_add_f64 v[32:33], v[10:11], v[24:25]
	v_add_f64 v[34:35], v[22:23], v[32:33]
	s_mov_b32 s6, 0
	v_ldexp_f64 v[36:37], v[34:35], -2
	s_mov_b32 s7, 0x7ff00000
	v_fract_f64_e32 v[38:39], v[36:37]
	v_cmp_neq_f64_e64 vcc, |v[36:37]|, s[6:7]
	v_cndmask_b32_e32 v37, 0, v39, vcc
	v_cndmask_b32_e32 v36, 0, v38, vcc
	v_add_f64 v[38:39], v[32:33], -v[10:11]
	v_add_f64 v[24:25], v[24:25], -v[38:39]
	;; [unrolled: 1-line block ×4, first 2 shown]
	v_add_f64 v[24:25], v[24:25], v[38:39]
	v_fma_f64 v[10:11], v[28:29], v[8:9], -v[10:11]
	v_mul_f64 v[38:39], v[26:27], v[8:9]
	v_add_f64 v[50:51], v[38:39], v[10:11]
	v_add_f64 v[52:53], v[50:51], v[24:25]
	v_add_f64 v[22:23], v[34:35], -v[22:23]
	v_add_f64 v[34:35], v[52:53], -v[50:51]
	;; [unrolled: 1-line block ×5, first 2 shown]
	v_add_f64 v[24:25], v[24:25], v[34:35]
	v_add_f64 v[34:35], v[50:51], -v[38:39]
	v_add_f64 v[10:11], v[10:11], -v[34:35]
	;; [unrolled: 1-line block ×5, first 2 shown]
	v_add_f64 v[32:33], v[22:23], v[52:53]
	v_add_f64 v[10:11], v[10:11], v[34:35]
	v_add_f64 v[22:23], v[32:33], -v[22:23]
	v_add_f64 v[10:11], v[10:11], v[24:25]
	v_fma_f64 v[8:9], v[26:27], v[8:9], -v[38:39]
	v_add_f64 v[22:23], v[52:53], -v[22:23]
	v_add_f64 v[8:9], v[8:9], v[10:11]
	v_ldexp_f64 v[10:11], v[36:37], 2
	v_add_f64 v[8:9], v[22:23], v[8:9]
	v_add_f64 v[22:23], v[32:33], v[10:11]
	v_mov_b32_e32 v15, 0x40100000
	v_cmp_gt_f64_e32 vcc, 0, v[22:23]
	v_mov_b32_e32 v48, 0
	v_cndmask_b32_e32 v49, 0, v15, vcc
	v_add_f64 v[10:11], v[10:11], v[48:49]
	v_add_f64 v[22:23], v[32:33], v[10:11]
	v_cvt_i32_f64_e32 v15, v[22:23]
	v_cvt_f64_i32_e32 v[22:23], v15
	v_add_f64 v[10:11], v[10:11], -v[22:23]
	v_add_f64 v[22:23], v[32:33], v[10:11]
	v_add_f64 v[10:11], v[22:23], -v[10:11]
	v_add_f64 v[10:11], v[32:33], -v[10:11]
	v_add_f64 v[8:9], v[8:9], v[10:11]
	v_cmp_le_f64_e32 vcc, 0.5, v[22:23]
	v_mov_b32_e32 v10, 0x3ff00000
	v_cndmask_b32_e32 v49, 0, v10, vcc
	v_add_f64 v[10:11], v[22:23], -v[48:49]
	v_add_f64 v[22:23], v[10:11], v[8:9]
	v_addc_co_u32_e64 v32, s[6:7], 0, v15, vcc
	v_add_f64 v[10:11], v[22:23], -v[10:11]
	s_mov_b32 s19, 0x3ff921fb
	v_add_f64 v[8:9], v[8:9], -v[10:11]
	v_mul_f64 v[10:11], v[22:23], s[18:19]
	s_mov_b32 s6, 0x33145c07
	v_fma_f64 v[24:25], v[22:23], s[18:19], -v[10:11]
	s_mov_b32 s7, 0x3c91a626
	v_fmac_f64_e32 v[24:25], s[6:7], v[22:23]
	v_fmac_f64_e32 v[24:25], s[18:19], v[8:9]
	v_add_f64 v[22:23], v[10:11], v[24:25]
	v_add_f64 v[8:9], v[22:23], -v[10:11]
	v_add_f64 v[24:25], v[24:25], -v[8:9]
	s_andn2_saveexec_b64 s[6:7], s[20:21]
	s_cbranch_execz .LBB0_24
	s_branch .LBB0_23
.LBB0_22:
	s_andn2_saveexec_b64 s[6:7], s[20:21]
	s_cbranch_execz .LBB0_24
.LBB0_23:
	s_mov_b32 s18, 0x6dc9c883
	s_mov_b32 s19, 0x3fe45f30
	v_mul_f64 v[8:9], |v[6:7]|, s[18:19]
	s_mov_b32 s18, 0x54442d18
	v_rndne_f64_e32 v[8:9], v[8:9]
	s_mov_b32 s19, 0xbff921fb
	v_fma_f64 v[10:11], v[8:9], s[18:19], |v[6:7]|
	s_mov_b32 s19, 0xbc91a626
	s_mov_b32 s18, 0x33145c00
	v_mul_f64 v[22:23], v[8:9], s[18:19]
	v_add_f64 v[34:35], v[10:11], v[22:23]
	v_fma_f64 v[24:25], s[18:19], v[8:9], v[10:11]
	s_mov_b32 s19, 0x3c91a626
	v_add_f64 v[10:11], v[10:11], -v[34:35]
	v_fma_f64 v[32:33], s[18:19], v[8:9], v[22:23]
	v_add_f64 v[10:11], v[10:11], v[22:23]
	v_add_f64 v[22:23], v[34:35], -v[24:25]
	v_add_f64 v[10:11], v[22:23], v[10:11]
	s_mov_b32 s18, 0x252049c0
	v_add_f64 v[10:11], v[10:11], -v[32:33]
	s_mov_b32 s19, 0xb97b839a
	v_fmac_f64_e32 v[10:11], s[18:19], v[8:9]
	v_add_f64 v[22:23], v[24:25], v[10:11]
	v_add_f64 v[24:25], v[22:23], -v[24:25]
	v_add_f64 v[24:25], v[10:11], -v[24:25]
	v_cvt_i32_f64_e32 v32, v[8:9]
.LBB0_24:
	s_or_b64 exec, exec, s[6:7]
                                        ; implicit-def: $vgpr15
                                        ; implicit-def: $vgpr8_vgpr9
                                        ; implicit-def: $vgpr10_vgpr11
	s_and_saveexec_b64 s[6:7], s[16:17]
	s_xor_b64 s[16:17], exec, s[6:7]
	s_cbranch_execz .LBB0_26
; %bb.25:
	s_mov_b32 s6, 0
	s_mov_b32 s7, 0x7b000000
	s_movk_i32 s18, 0xff80
	v_and_b32_e32 v10, 0x7fffffff, v7
	v_ldexp_f64 v[8:9], |v[6:7]|, s18
	v_cmp_ge_f64_e64 vcc, |v[6:7]|, s[6:7]
	v_cndmask_b32_e32 v9, v10, v9, vcc
	v_cndmask_b32_e32 v8, v6, v8, vcc
	v_mul_f64 v[34:35], v[30:31], v[8:9]
	v_mul_f64 v[10:11], v[28:29], v[8:9]
	v_fma_f64 v[30:31], v[30:31], v[8:9], -v[34:35]
	v_add_f64 v[36:37], v[10:11], v[30:31]
	v_add_f64 v[38:39], v[34:35], v[36:37]
	s_mov_b32 s6, 0
	v_ldexp_f64 v[48:49], v[38:39], -2
	s_mov_b32 s7, 0x7ff00000
	v_fract_f64_e32 v[50:51], v[48:49]
	v_cmp_neq_f64_e64 vcc, |v[48:49]|, s[6:7]
	v_cndmask_b32_e32 v49, 0, v51, vcc
	v_cndmask_b32_e32 v48, 0, v50, vcc
	v_add_f64 v[50:51], v[36:37], -v[10:11]
	v_add_f64 v[30:31], v[30:31], -v[50:51]
	;; [unrolled: 1-line block ×4, first 2 shown]
	v_fma_f64 v[10:11], v[28:29], v[8:9], -v[10:11]
	v_mul_f64 v[28:29], v[26:27], v[8:9]
	v_add_f64 v[30:31], v[30:31], v[50:51]
	v_add_f64 v[50:51], v[28:29], v[10:11]
	;; [unrolled: 1-line block ×3, first 2 shown]
	v_add_f64 v[34:35], v[38:39], -v[34:35]
	v_add_f64 v[38:39], v[54:55], -v[50:51]
	;; [unrolled: 1-line block ×5, first 2 shown]
	v_add_f64 v[30:31], v[30:31], v[38:39]
	v_add_f64 v[38:39], v[50:51], -v[28:29]
	v_add_f64 v[10:11], v[10:11], -v[38:39]
	;; [unrolled: 1-line block ×4, first 2 shown]
	v_add_f64 v[10:11], v[10:11], v[38:39]
	v_add_f64 v[34:35], v[36:37], -v[34:35]
	v_add_f64 v[10:11], v[10:11], v[30:31]
	v_fma_f64 v[8:9], v[26:27], v[8:9], -v[28:29]
	v_add_f64 v[36:37], v[34:35], v[54:55]
	v_add_f64 v[8:9], v[8:9], v[10:11]
	v_ldexp_f64 v[10:11], v[48:49], 2
	v_add_f64 v[26:27], v[36:37], v[10:11]
	v_mov_b32_e32 v15, 0x40100000
	v_cmp_gt_f64_e32 vcc, 0, v[26:27]
	v_mov_b32_e32 v52, 0
	v_cndmask_b32_e32 v53, 0, v15, vcc
	v_add_f64 v[10:11], v[10:11], v[52:53]
	v_add_f64 v[26:27], v[36:37], v[10:11]
	v_cvt_i32_f64_e32 v15, v[26:27]
	v_cvt_f64_i32_e32 v[26:27], v15
	v_add_f64 v[10:11], v[10:11], -v[26:27]
	v_add_f64 v[34:35], v[36:37], -v[34:35]
	v_add_f64 v[26:27], v[36:37], v[10:11]
	v_add_f64 v[34:35], v[54:55], -v[34:35]
	v_add_f64 v[10:11], v[26:27], -v[10:11]
	v_add_f64 v[8:9], v[34:35], v[8:9]
	v_add_f64 v[10:11], v[36:37], -v[10:11]
	v_add_f64 v[8:9], v[8:9], v[10:11]
	v_cmp_le_f64_e32 vcc, 0.5, v[26:27]
	v_mov_b32_e32 v10, 0x3ff00000
	v_cndmask_b32_e32 v53, 0, v10, vcc
	v_addc_co_u32_e64 v15, s[6:7], 0, v15, vcc
	v_add_f64 v[10:11], v[26:27], -v[52:53]
	v_add_f64 v[26:27], v[10:11], v[8:9]
	s_mov_b32 s6, 0x54442d18
	v_add_f64 v[10:11], v[26:27], -v[10:11]
	s_mov_b32 s7, 0x3ff921fb
	v_add_f64 v[8:9], v[8:9], -v[10:11]
	v_mul_f64 v[10:11], v[26:27], s[6:7]
	s_mov_b32 s18, 0x33145c07
	v_fma_f64 v[28:29], v[26:27], s[6:7], -v[10:11]
	s_mov_b32 s19, 0x3c91a626
	v_fmac_f64_e32 v[28:29], s[18:19], v[26:27]
	v_fmac_f64_e32 v[28:29], s[6:7], v[8:9]
	v_add_f64 v[8:9], v[10:11], v[28:29]
	v_add_f64 v[10:11], v[8:9], -v[10:11]
	v_add_f64 v[10:11], v[28:29], -v[10:11]
	s_andn2_saveexec_b64 s[6:7], s[16:17]
	s_cbranch_execnz .LBB0_27
	s_branch .LBB0_28
.LBB0_26:
	s_andn2_saveexec_b64 s[6:7], s[16:17]
	s_cbranch_execz .LBB0_28
.LBB0_27:
	s_mov_b32 s16, 0x6dc9c883
	s_mov_b32 s17, 0x3fe45f30
	v_mul_f64 v[8:9], |v[6:7]|, s[16:17]
	s_mov_b32 s16, 0x54442d18
	v_rndne_f64_e32 v[26:27], v[8:9]
	s_mov_b32 s17, 0xbff921fb
	v_fma_f64 v[8:9], v[26:27], s[16:17], |v[6:7]|
	s_mov_b32 s17, 0xbc91a626
	s_mov_b32 s16, 0x33145c00
	v_mul_f64 v[28:29], v[26:27], s[16:17]
	v_add_f64 v[34:35], v[8:9], v[28:29]
	v_fma_f64 v[10:11], s[16:17], v[26:27], v[8:9]
	s_mov_b32 s17, 0x3c91a626
	v_add_f64 v[8:9], v[8:9], -v[34:35]
	v_fma_f64 v[30:31], s[16:17], v[26:27], v[28:29]
	v_add_f64 v[8:9], v[8:9], v[28:29]
	v_add_f64 v[28:29], v[34:35], -v[10:11]
	v_add_f64 v[8:9], v[28:29], v[8:9]
	s_mov_b32 s16, 0x252049c0
	v_add_f64 v[28:29], v[8:9], -v[30:31]
	s_mov_b32 s17, 0xb97b839a
	v_fmac_f64_e32 v[28:29], s[16:17], v[26:27]
	v_add_f64 v[8:9], v[10:11], v[28:29]
	v_add_f64 v[10:11], v[8:9], -v[10:11]
	v_add_f64 v[10:11], v[28:29], -v[10:11]
	v_cvt_i32_f64_e32 v15, v[26:27]
.LBB0_28:
	s_or_b64 exec, exec, s[6:7]
	v_div_scale_f64 v[26:27], s[6:7], v[12:13], v[12:13], 1.0
	v_rcp_f64_e32 v[28:29], v[26:27]
	v_div_scale_f64 v[30:31], vcc, 1.0, v[12:13], 1.0
	v_mov_b32_e32 v36, 0xb99518a7
	v_fma_f64 v[34:35], -v[26:27], v[28:29], 1.0
	v_fmac_f64_e32 v[28:29], v[28:29], v[34:35]
	v_fma_f64 v[34:35], -v[26:27], v[28:29], 1.0
	v_fmac_f64_e32 v[28:29], v[28:29], v[34:35]
	v_mul_f64 v[34:35], v[30:31], v[28:29]
	v_fma_f64 v[26:27], -v[26:27], v[34:35], v[30:31]
	v_div_fmas_f64 v[26:27], v[26:27], v[28:29], v[34:35]
	v_div_fixup_f64 v[12:13], v[26:27], v[12:13], 1.0
	v_mul_f64 v[26:27], v[12:13], v[12:13]
	v_mov_b32_e32 v28, 0xd50ae6fb
	v_mov_b32_e32 v29, 0xbfc0db6c
	v_fmac_f64_e32 v[28:29], 0, v[26:27]
	v_mov_b32_e32 v30, 0x98566852
	v_mov_b32_e32 v31, 0xbfe40bee
	v_fmac_f64_e32 v[30:31], v[26:27], v[28:29]
	;; [unrolled: 3-line block ×16, first 2 shown]
	v_mov_b32_e32 v37, 0x3e9e52b9
	v_mul_f64 v[38:39], v[22:23], v[22:23]
	v_fmac_f64_e32 v[36:37], v[26:27], v[34:35]
	v_mov_b32_e32 v34, 0xf68ea2d2
	v_mov_b32_e32 v35, 0xbe52041c
	v_mul_f64 v[28:29], v[38:39], 0.5
	v_fmac_f64_e32 v[34:35], v[26:27], v[30:31]
	v_add_f64 v[30:31], -v[28:29], 1.0
	s_mov_b32 s6, 0x9037ab78
	v_add_f64 v[48:49], -v[30:31], 1.0
	s_mov_b32 s7, 0x3e21eeb6
	s_mov_b32 s16, 0x46cc5e42
	v_add_f64 v[48:49], v[48:49], -v[28:29]
	s_mov_b32 s17, 0xbda907db
	v_pk_mov_b32 v[28:29], s[6:7], s[6:7] op_sel:[0,1]
	s_mov_b32 s18, 0xa17f65f6
	v_fma_f64 v[52:53], s[16:17], v[38:39], v[28:29]
	s_mov_b32 s19, 0xbe927e4f
	s_mov_b32 s20, 0x19f4ec90
	v_fma_f64 v[52:53], v[38:39], v[52:53], s[18:19]
	s_mov_b32 s21, 0x3efa01a0
	;; [unrolled: 3-line block ×4, first 2 shown]
	v_mul_f64 v[50:51], v[38:39], v[38:39]
	v_fma_f64 v[52:53], v[38:39], v[52:53], s[24:25]
	v_fma_f64 v[48:49], v[22:23], -v[24:25], v[48:49]
	s_mov_b32 s6, 0xb42fdfa7
	v_fmac_f64_e32 v[48:49], v[50:51], v[52:53]
	s_mov_b32 s7, 0xbe5ae600
	s_mov_b32 s26, 0xf9a43bb8
	v_add_f64 v[48:49], v[30:31], v[48:49]
	s_mov_b32 s27, 0x3de5e0b2
	v_pk_mov_b32 v[30:31], s[6:7], s[6:7] op_sel:[0,1]
	s_mov_b32 s28, 0x796cde01
	v_fma_f64 v[50:51], s[26:27], v[38:39], v[30:31]
	s_mov_b32 s29, 0x3ec71de3
	s_mov_b32 s30, 0x19e83e5c
	v_fma_f64 v[50:51], v[38:39], v[50:51], s[28:29]
	s_mov_b32 s31, 0xbf2a01a0
	;; [unrolled: 3-line block ×3, first 2 shown]
	v_fma_f64 v[50:51], v[38:39], v[50:51], s[34:35]
	v_mul_f64 v[52:53], v[22:23], -v[38:39]
	v_mul_f64 v[54:55], v[24:25], 0.5
	v_fmac_f64_e32 v[54:55], v[52:53], v[50:51]
	v_fma_f64 v[24:25], v[38:39], v[54:55], -v[24:25]
	s_mov_b32 s37, 0xbfc55555
	s_mov_b32 s36, s24
	v_fmac_f64_e32 v[24:25], s[36:37], v[52:53]
	v_add_f64 v[22:23], v[22:23], -v[24:25]
	v_and_b32_e32 v24, 1, v32
	v_cmp_eq_u32_e32 vcc, 0, v24
	v_cndmask_b32_e32 v38, v48, v22, vcc
	v_cndmask_b32_e32 v22, v49, v23, vcc
	v_lshlrev_b32_e32 v23, 30, v32
	v_xor_b32_e32 v23, v23, v7
	v_and_b32_e32 v23, 0x80000000, v23
	v_xor_b32_e32 v39, v22, v23
	v_mul_f64 v[22:23], v[26:27], v[34:35]
	v_div_scale_f64 v[24:25], s[6:7], v[36:37], v[36:37], v[22:23]
	v_rcp_f64_e32 v[32:33], v[24:25]
	s_movk_i32 vcc_lo, 0x1f8
	v_cmp_class_f64_e64 s[6:7], v[6:7], vcc_lo
	v_mov_b32_e32 v50, 0x7ff80000
	v_fma_f64 v[34:35], -v[24:25], v[32:33], 1.0
	v_fmac_f64_e32 v[32:33], v[32:33], v[34:35]
	v_fma_f64 v[34:35], -v[24:25], v[32:33], 1.0
	v_fmac_f64_e32 v[32:33], v[32:33], v[34:35]
	v_div_scale_f64 v[34:35], vcc, v[22:23], v[36:37], v[22:23]
	v_cndmask_b32_e64 v6, 0, v38, s[6:7]
	v_cndmask_b32_e64 v7, v50, v39, s[6:7]
	v_mul_f64 v[38:39], v[34:35], v[32:33]
	v_fma_f64 v[24:25], -v[24:25], v[38:39], v[34:35]
	v_div_fmas_f64 v[24:25], v[24:25], v[32:33], v[38:39]
	v_div_fixup_f64 v[22:23], v[24:25], v[36:37], v[22:23]
	v_mov_b32_e32 v24, 0xddcfbbde
	v_mov_b32_e32 v25, 0x3f943525
	v_fmac_f64_e32 v[24:25], 0, v[26:27]
	v_mov_b32_e32 v32, 0x6437b7
	v_mov_b32_e32 v33, 0x3fd907d5
	v_fmac_f64_e32 v[32:33], v[26:27], v[24:25]
	;; [unrolled: 3-line block ×16, first 2 shown]
	v_mov_b32_e32 v34, 0xed64a9ee
	v_mov_b32_e32 v35, 0x3fb6221d
	s_mov_b32 vcc_lo, 0
	v_fmac_f64_e32 v[34:35], v[26:27], v[32:33]
	v_mov_b32_e32 v32, 0x6be393bb
	v_mov_b32_e32 v33, 0x3f70e704
	s_brev_b32 vcc_hi, 8
	v_fmac_f64_e32 v[32:33], v[26:27], v[34:35]
	v_mov_b32_e32 v34, 0xd603a5a0
	v_mov_b32_e32 v35, 0x3f1a8b61
	v_cmp_gt_f64_e32 vcc, vcc, v[2:3]
	v_fmac_f64_e32 v[34:35], v[26:27], v[32:33]
	v_cndmask_b32_e64 v32, 0, 1, vcc
	v_lshlrev_b32_e32 v32, 8, v32
	v_ldexp_f64 v[2:3], v[2:3], v32
	v_rsq_f64_e32 v[32:33], v[2:3]
	v_mov_b32_e32 v36, 0xdb0724e8
	v_mov_b32_e32 v37, 0x3eb3a845
	v_fmac_f64_e32 v[36:37], v[26:27], v[34:35]
	v_mul_f64 v[34:35], v[2:3], v[32:33]
	v_mul_f64 v[32:33], v[32:33], 0.5
	v_fma_f64 v[38:39], -v[32:33], v[34:35], 0.5
	v_fmac_f64_e32 v[34:35], v[34:35], v[38:39]
	v_fma_f64 v[48:49], -v[34:35], v[34:35], v[2:3]
	v_fmac_f64_e32 v[32:33], v[32:33], v[38:39]
	v_fmac_f64_e32 v[34:35], v[48:49], v[32:33]
	v_fma_f64 v[38:39], -v[34:35], v[34:35], v[2:3]
	v_fmac_f64_e32 v[34:35], v[38:39], v[32:33]
	v_mov_b32_e32 v32, 0xffffff80
	v_cndmask_b32_e32 v32, 0, v32, vcc
	v_ldexp_f64 v[32:33], v[34:35], v32
	v_mov_b32_e32 v34, 0x260
	v_cmp_class_f64_e32 vcc, v[2:3], v34
	s_mov_b32 s40, 0x50429b6d
	v_cndmask_b32_e32 v3, v33, v3, vcc
	v_cndmask_b32_e32 v2, v32, v2, vcc
	s_mov_b32 s41, 0x3fe20dd7
	v_div_scale_f64 v[32:33], vcc, v[2:3], v[2:3], s[40:41]
	v_rcp_f64_e32 v[34:35], v[32:33]
	v_mov_b32_e32 v38, 0x3dd589d4
	v_mov_b32_e32 v39, 0x3e351fc7
	v_fmac_f64_e32 v[38:39], v[26:27], v[36:37]
	v_fma_f64 v[26:27], -v[32:33], v[34:35], 1.0
	v_fmac_f64_e32 v[34:35], v[34:35], v[26:27]
	v_fma_f64 v[26:27], -v[32:33], v[34:35], 1.0
	v_fmac_f64_e32 v[34:35], v[34:35], v[26:27]
	v_div_scale_f64 v[26:27], vcc, s[40:41], v[2:3], s[40:41]
	v_mul_f64 v[36:37], v[26:27], v[34:35]
	v_fma_f64 v[26:27], -v[32:33], v[36:37], v[26:27]
	v_add_f64 v[22:23], v[22:23], 1.0
	s_nop 0
	v_div_fmas_f64 v[26:27], v[26:27], v[34:35], v[36:37]
	v_div_fixup_f64 v[2:3], v[26:27], v[2:3], s[40:41]
	v_mul_f64 v[26:27], v[8:9], v[8:9]
	v_mul_f64 v[32:33], v[26:27], 0.5
	v_fmac_f64_e32 v[28:29], s[16:17], v[26:27]
	v_add_f64 v[34:35], -v[32:33], 1.0
	v_fma_f64 v[28:29], v[26:27], v[28:29], s[18:19]
	v_add_f64 v[36:37], -v[34:35], 1.0
	v_fma_f64 v[28:29], v[26:27], v[28:29], s[20:21]
	v_add_f64 v[32:33], v[36:37], -v[32:33]
	v_fma_f64 v[28:29], v[26:27], v[28:29], s[22:23]
	v_fmac_f64_e32 v[30:31], s[26:27], v[26:27]
	v_mul_f64 v[36:37], v[26:27], v[26:27]
	v_fma_f64 v[28:29], v[26:27], v[28:29], s[24:25]
	v_fma_f64 v[32:33], v[8:9], -v[10:11], v[32:33]
	v_fma_f64 v[30:31], v[26:27], v[30:31], s[28:29]
	v_fmac_f64_e32 v[32:33], v[36:37], v[28:29]
	v_fma_f64 v[30:31], v[26:27], v[30:31], s[30:31]
	v_add_f64 v[28:29], v[34:35], v[32:33]
	v_fma_f64 v[30:31], v[26:27], v[30:31], s[34:35]
	v_mul_f64 v[32:33], v[8:9], -v[26:27]
	v_mul_f64 v[34:35], v[10:11], 0.5
	v_fmac_f64_e32 v[34:35], v[32:33], v[30:31]
	v_fma_f64 v[10:11], v[26:27], v[34:35], -v[10:11]
	v_fmac_f64_e32 v[10:11], s[36:37], v[32:33]
	v_add_f64 v[8:9], v[8:9], -v[10:11]
	v_and_b32_e32 v10, 1, v15
	v_cmp_eq_u32_e32 vcc, 0, v10
	v_xor_b32_e32 v9, 0x80000000, v9
	v_cndmask_b32_e32 v26, v8, v28, vcc
	v_lshlrev_b32_e32 v8, 30, v15
	v_cndmask_b32_e32 v27, v9, v29, vcc
	v_and_b32_e32 v15, 0x80000000, v8
	v_mul_f64 v[8:9], v[12:13], v[24:25]
	v_div_scale_f64 v[10:11], s[16:17], v[38:39], v[38:39], v[8:9]
	v_rcp_f64_e32 v[12:13], v[10:11]
	v_xor_b32_e32 v15, v27, v15
	v_cndmask_b32_e64 v24, 0, v26, s[6:7]
	v_cndmask_b32_e64 v25, v50, v15, s[6:7]
	v_fma_f64 v[26:27], -v[10:11], v[12:13], 1.0
	v_fmac_f64_e32 v[12:13], v[12:13], v[26:27]
	v_fma_f64 v[26:27], -v[10:11], v[12:13], 1.0
	v_fmac_f64_e32 v[12:13], v[12:13], v[26:27]
	v_div_scale_f64 v[26:27], vcc, v[8:9], v[38:39], v[8:9]
	v_mul_f64 v[28:29], v[26:27], v[12:13]
	v_fma_f64 v[10:11], -v[10:11], v[28:29], v[26:27]
	s_nop 1
	v_div_fmas_f64 v[10:11], v[10:11], v[12:13], v[28:29]
	v_div_fixup_f64 v[8:9], v[10:11], v[38:39], v[8:9]
	v_mul_f64 v[8:9], v[8:9], v[24:25]
	v_fma_f64 v[6:7], v[22:23], v[6:7], -v[8:9]
	v_mul_f64 v[6:7], v[2:3], v[6:7]
.LBB0_29:
	s_or_b64 exec, exec, s[14:15]
.LBB0_30:
	s_or_b64 exec, exec, s[12:13]
.LBB0_31:
	s_or_b64 exec, exec, s[10:11]
.LBB0_32:
	s_or_b64 exec, exec, s[8:9]
	v_add_u32_e32 v36, 0x100, v5
	v_cmp_lt_i32_e32 vcc, v36, v4
	s_and_saveexec_b64 s[8:9], vcc
	s_cbranch_execz .LBB0_56
; %bb.33:
	s_mov_b32 s6, 0
	s_mov_b32 s7, 0x7ff00000
	v_mov_b32_e32 v8, 0
	s_waitcnt vmcnt(0) lgkmcnt(0)
	v_cmp_neq_f64_e64 s[6:7], |v[20:21]|, s[6:7]
	v_mov_b32_e32 v9, 0x7ff80000
	s_and_saveexec_b64 s[10:11], s[6:7]
	s_cbranch_execz .LBB0_55
; %bb.34:
	s_mov_b32 s6, 0x872b020c
	s_mov_b32 s7, 0x4059f916
	v_cmp_nlt_f64_e32 vcc, s[6:7], v[20:21]
	v_pk_mov_b32 v[8:9], 0, 0
	s_and_saveexec_b64 s[12:13], vcc
	s_cbranch_execz .LBB0_54
; %bb.35:
	s_mov_b32 s7, 0xc000b851
	s_mov_b32 s6, 0xeb851eb8
	v_cmp_ngt_f64_e32 vcc, s[6:7], v[20:21]
	s_and_saveexec_b64 s[14:15], vcc
	s_xor_b64 s[14:15], exec, s[14:15]
	s_cbranch_execz .LBB0_43
; %bb.36:
	s_mov_b32 s7, 0x4000b851
	v_cmp_nle_f64_e64 s[16:17], s[6:7], v[20:21]
	v_cmp_le_f64_e32 vcc, s[6:7], v[20:21]
	v_pk_mov_b32 v[8:9], 0, 0
	s_mov_b64 s[6:7], s[16:17]
	s_and_saveexec_b64 s[18:19], vcc
	s_cbranch_execz .LBB0_38
; %bb.37:
	s_mov_b32 s6, 0
	s_brev_b32 s7, 8
	v_cmp_gt_f64_e32 vcc, s[6:7], v[20:21]
	v_cndmask_b32_e64 v2, 0, 1, vcc
	v_lshlrev_b32_e32 v2, 8, v2
	v_ldexp_f64 v[2:3], v[20:21], v2
	v_rsq_f64_e32 v[8:9], v[2:3]
	v_mov_b32_e32 v15, 0xffffff80
	v_mov_b32_e32 v34, 0x260
	v_add_f64 v[22:23], v[20:21], v[20:21]
	v_mul_f64 v[24:25], v[2:3], v[8:9]
	v_mul_f64 v[8:9], v[8:9], 0.5
	v_fma_f64 v[26:27], -v[8:9], v[24:25], 0.5
	v_fmac_f64_e32 v[24:25], v[24:25], v[26:27]
	v_fma_f64 v[28:29], -v[24:25], v[24:25], v[2:3]
	v_fmac_f64_e32 v[8:9], v[8:9], v[26:27]
	v_fmac_f64_e32 v[24:25], v[28:29], v[8:9]
	v_fma_f64 v[26:27], -v[24:25], v[24:25], v[2:3]
	v_fmac_f64_e32 v[24:25], v[26:27], v[8:9]
	v_cndmask_b32_e32 v8, 0, v15, vcc
	v_ldexp_f64 v[8:9], v[24:25], v8
	v_cmp_class_f64_e32 vcc, v[2:3], v34
	v_cndmask_b32_e32 v3, v9, v3, vcc
	v_cndmask_b32_e32 v2, v8, v2, vcc
	s_mov_b32 s20, 0
	v_mul_f64 v[8:9], v[22:23], v[2:3]
	s_mov_b32 s21, 0x40080000
	v_div_scale_f64 v[22:23], s[22:23], s[20:21], s[20:21], v[8:9]
	v_rcp_f64_e32 v[24:25], v[22:23]
	v_fma_f64 v[26:27], -v[22:23], v[24:25], 1.0
	v_fmac_f64_e32 v[24:25], v[24:25], v[26:27]
	v_fma_f64 v[26:27], -v[22:23], v[24:25], 1.0
	v_fmac_f64_e32 v[24:25], v[24:25], v[26:27]
	v_div_scale_f64 v[26:27], vcc, v[8:9], s[20:21], v[8:9]
	v_mul_f64 v[28:29], v[26:27], v[24:25]
	v_fma_f64 v[22:23], -v[22:23], v[28:29], v[26:27]
	s_nop 1
	v_div_fmas_f64 v[22:23], v[22:23], v[24:25], v[28:29]
	v_div_fixup_f64 v[8:9], v[22:23], s[20:21], v[8:9]
	v_div_scale_f64 v[22:23], s[20:21], v[8:9], v[8:9], 1.0
	v_rcp_f64_e32 v[24:25], v[22:23]
	v_fma_f64 v[26:27], -v[22:23], v[24:25], 1.0
	v_fmac_f64_e32 v[24:25], v[24:25], v[26:27]
	v_fma_f64 v[26:27], -v[22:23], v[24:25], 1.0
	v_fmac_f64_e32 v[24:25], v[24:25], v[26:27]
	v_div_scale_f64 v[26:27], vcc, 1.0, v[8:9], 1.0
	v_mul_f64 v[28:29], v[26:27], v[24:25]
	v_fma_f64 v[22:23], -v[22:23], v[28:29], v[26:27]
	v_mov_b32_e32 v26, 0x871a9067
	s_nop 0
	v_div_fmas_f64 v[22:23], v[22:23], v[24:25], v[28:29]
	v_div_fixup_f64 v[22:23], v[22:23], v[8:9], 1.0
	v_mov_b32_e32 v24, 0x2537b658
	v_mov_b32_e32 v25, 0x3fd62dae
	v_fmac_f64_e32 v[24:25], 0, v[22:23]
	v_mov_b32_e32 v27, 0x402803e3
	v_fmac_f64_e32 v[26:27], v[22:23], v[24:25]
	v_mov_b32_e32 v24, 0xde2e1e3
	v_mov_b32_e32 v25, 0x405311e5
	v_fmac_f64_e32 v[24:25], v[22:23], v[26:27]
	v_mov_b32_e32 v26, 0xee40073c
	;; [unrolled: 3-line block ×12, first 2 shown]
	v_mov_b32_e32 v27, 0x402c311b
	v_fmac_f64_e32 v[26:27], v[22:23], v[28:29]
	v_fma_f64 v[26:27], v[22:23], v[26:27], 1.0
	v_fma_f64 v[22:23], v[22:23], v[24:25], 1.0
	v_div_scale_f64 v[24:25], s[20:21], v[26:27], v[26:27], v[22:23]
	v_rcp_f64_e32 v[28:29], v[24:25]
	v_fma_f64 v[30:31], -v[24:25], v[28:29], 1.0
	v_fmac_f64_e32 v[28:29], v[28:29], v[30:31]
	v_fma_f64 v[30:31], -v[24:25], v[28:29], 1.0
	v_fmac_f64_e32 v[28:29], v[28:29], v[30:31]
	v_div_scale_f64 v[30:31], vcc, v[22:23], v[26:27], v[22:23]
	v_mul_f64 v[32:33], v[30:31], v[28:29]
	v_fma_f64 v[24:25], -v[24:25], v[32:33], v[30:31]
	s_nop 1
	v_div_fmas_f64 v[24:25], v[24:25], v[28:29], v[32:33]
	v_cmp_gt_f64_e32 vcc, s[6:7], v[2:3]
	v_div_fixup_f64 v[22:23], v[24:25], v[26:27], v[22:23]
	v_cndmask_b32_e64 v24, 0, 1, vcc
	v_lshlrev_b32_e32 v24, 8, v24
	v_ldexp_f64 v[2:3], v[2:3], v24
	v_rsq_f64_e32 v[24:25], v[2:3]
	s_mov_b32 s6, 0x50429b6d
	s_mov_b32 s7, 0x3fe20dd7
	v_mul_f64 v[22:23], v[22:23], s[6:7]
	v_mul_f64 v[26:27], v[2:3], v[24:25]
	v_mul_f64 v[24:25], v[24:25], 0.5
	v_fma_f64 v[28:29], -v[24:25], v[26:27], 0.5
	v_fmac_f64_e32 v[26:27], v[26:27], v[28:29]
	v_fma_f64 v[30:31], -v[26:27], v[26:27], v[2:3]
	v_fmac_f64_e32 v[24:25], v[24:25], v[28:29]
	v_fmac_f64_e32 v[26:27], v[30:31], v[24:25]
	v_fma_f64 v[28:29], -v[26:27], v[26:27], v[2:3]
	v_fmac_f64_e32 v[26:27], v[28:29], v[24:25]
	v_cndmask_b32_e32 v15, 0, v15, vcc
	s_mov_b32 s6, 0x652b82fe
	v_ldexp_f64 v[24:25], v[26:27], v15
	v_cmp_class_f64_e32 vcc, v[2:3], v34
	s_mov_b32 s7, 0x3ff71547
	v_cndmask_b32_e32 v3, v25, v3, vcc
	v_cndmask_b32_e32 v2, v24, v2, vcc
	v_mul_f64 v[24:25], v[8:9], s[6:7]
	s_mov_b32 s6, 0xfefa39ef
	v_rndne_f64_e32 v[24:25], v[24:25]
	s_mov_b32 s7, 0xbfe62e42
	v_fma_f64 v[26:27], s[6:7], v[24:25], v[8:9]
	s_mov_b32 s6, 0x3b39803f
	s_mov_b32 s7, 0xbc7abc9e
	v_fmac_f64_e32 v[26:27], s[6:7], v[24:25]
	s_mov_b32 s6, 0x6a5dcb37
	v_mov_b32_e32 v28, 0xfca7ab0c
	v_mov_b32_e32 v29, 0x3e928af3
	s_mov_b32 s7, 0x3e5ade15
	v_fmac_f64_e32 v[28:29], s[6:7], v[26:27]
	v_mov_b32_e32 v30, 0x623fde64
	v_mov_b32_e32 v31, 0x3ec71dee
	v_fmac_f64_e32 v[30:31], v[26:27], v[28:29]
	v_mov_b32_e32 v28, 0x7c89e6b0
	v_mov_b32_e32 v29, 0x3efa0199
	v_fmac_f64_e32 v[28:29], v[26:27], v[30:31]
	v_mov_b32_e32 v30, 0x14761f6e
	v_mov_b32_e32 v31, 0x3f2a01a0
	v_fmac_f64_e32 v[30:31], v[26:27], v[28:29]
	v_mov_b32_e32 v28, 0x1852b7b0
	v_mov_b32_e32 v29, 0x3f56c16c
	v_fmac_f64_e32 v[28:29], v[26:27], v[30:31]
	v_mov_b32_e32 v30, 0x11122322
	v_mov_b32_e32 v31, 0x3f811111
	v_fmac_f64_e32 v[30:31], v[26:27], v[28:29]
	v_mov_b32_e32 v28, 0x555502a1
	v_mov_b32_e32 v29, 0x3fa55555
	v_fmac_f64_e32 v[28:29], v[26:27], v[30:31]
	v_mov_b32_e32 v30, 0x55555511
	v_mov_b32_e32 v31, 0x3fc55555
	v_fmac_f64_e32 v[30:31], v[26:27], v[28:29]
	v_mov_b32_e32 v28, 11
	v_mov_b32_e32 v29, 0x3fe00000
	s_mov_b32 s6, 0
	v_fmac_f64_e32 v[28:29], v[26:27], v[30:31]
	s_mov_b32 s7, 0x40900000
	v_fma_f64 v[28:29], v[26:27], v[28:29], 1.0
	v_cmp_nlt_f64_e32 vcc, s[6:7], v[8:9]
	s_mov_b32 s6, 0
	v_fma_f64 v[26:27], v[26:27], v[28:29], 1.0
	v_cvt_i32_f64_e32 v15, v[24:25]
	s_mov_b32 s7, 0xc090cc00
	v_ldexp_f64 v[24:25], v[26:27], v15
	v_mov_b32_e32 v15, 0x7ff00000
	v_cmp_ngt_f64_e64 s[6:7], s[6:7], v[8:9]
	v_cndmask_b32_e32 v15, v15, v25, vcc
	s_and_b64 vcc, s[6:7], vcc
	v_add_f64 v[2:3], v[2:3], v[2:3]
	v_cndmask_b32_e64 v9, 0, v15, s[6:7]
	v_cndmask_b32_e32 v8, 0, v24, vcc
	v_mul_f64 v[2:3], v[2:3], v[8:9]
	v_div_scale_f64 v[8:9], s[6:7], v[2:3], v[2:3], v[22:23]
	v_rcp_f64_e32 v[24:25], v[8:9]
	s_mov_b32 s6, 0xfd0a823a
	s_mov_b32 s7, 0x4020a402
	v_fma_f64 v[26:27], -v[8:9], v[24:25], 1.0
	v_fmac_f64_e32 v[24:25], v[24:25], v[26:27]
	v_fma_f64 v[26:27], -v[8:9], v[24:25], 1.0
	v_fmac_f64_e32 v[24:25], v[24:25], v[26:27]
	v_div_scale_f64 v[26:27], vcc, v[22:23], v[2:3], v[22:23]
	v_mul_f64 v[28:29], v[26:27], v[24:25]
	v_fma_f64 v[8:9], -v[8:9], v[28:29], v[26:27]
	s_nop 1
	v_div_fmas_f64 v[8:9], v[8:9], v[24:25], v[28:29]
	v_cmp_nlt_f64_e32 vcc, s[6:7], v[20:21]
	s_andn2_b64 s[6:7], s[16:17], exec
	s_and_b64 s[20:21], vcc, exec
	v_div_fixup_f64 v[8:9], v[8:9], v[2:3], v[22:23]
	s_or_b64 s[6:7], s[6:7], s[20:21]
.LBB0_38:
	s_or_b64 exec, exec, s[18:19]
	s_and_saveexec_b64 s[18:19], s[6:7]
	s_cbranch_execz .LBB0_42
; %bb.39:
	v_mov_b32_e32 v28, 0
	v_mul_f64 v[2:3], v[20:21], v[20:21]
	v_mov_b32_e32 v29, 0x3ff00000
	s_mov_b32 s22, 0
	v_mul_f64 v[22:23], v[20:21], v[2:3]
	s_mov_b64 s[20:21], 0
	s_mov_b32 s23, 0x3cb00000
	v_pk_mov_b32 v[26:27], v[28:29], v[28:29] op_sel:[0,1]
	v_pk_mov_b32 v[24:25], v[20:21], v[20:21] op_sel:[0,1]
	;; [unrolled: 1-line block ×3, first 2 shown]
.LBB0_40:                               ; =>This Inner Loop Header: Depth=1
	v_mul_f64 v[28:29], v[22:23], v[28:29]
	v_add_f64 v[30:31], v[26:27], 1.0
	v_mul_f64 v[20:21], v[22:23], v[20:21]
	v_div_scale_f64 v[32:33], s[6:7], v[30:31], v[30:31], v[28:29]
	v_add_f64 v[38:39], v[30:31], 1.0
	v_rcp_f64_e32 v[48:49], v[32:33]
	v_div_scale_f64 v[50:51], s[6:7], v[38:39], v[38:39], v[20:21]
	v_rcp_f64_e32 v[54:55], v[50:51]
	v_fma_f64 v[64:65], -v[32:33], v[48:49], 1.0
	v_fmac_f64_e32 v[48:49], v[48:49], v[64:65]
	v_fma_f64 v[66:67], -v[32:33], v[48:49], 1.0
	v_fma_f64 v[64:65], -v[50:51], v[54:55], 1.0
	v_fmac_f64_e32 v[54:55], v[54:55], v[64:65]
	v_div_scale_f64 v[34:35], vcc, v[28:29], v[30:31], v[28:29]
	v_fmac_f64_e32 v[48:49], v[48:49], v[66:67]
	v_fma_f64 v[64:65], -v[50:51], v[54:55], 1.0
	v_div_scale_f64 v[52:53], s[6:7], v[20:21], v[38:39], v[20:21]
	v_mul_f64 v[66:67], v[34:35], v[48:49]
	v_fmac_f64_e32 v[54:55], v[54:55], v[64:65]
	v_fma_f64 v[32:33], -v[32:33], v[66:67], v[34:35]
	v_mul_f64 v[34:35], v[52:53], v[54:55]
	v_div_fmas_f64 v[32:33], v[32:33], v[48:49], v[66:67]
	v_fma_f64 v[48:49], -v[50:51], v[34:35], v[52:53]
	s_mov_b64 vcc, s[6:7]
	v_div_fixup_f64 v[28:29], v[32:33], v[30:31], v[28:29]
	v_div_fmas_f64 v[30:31], v[48:49], v[54:55], v[34:35]
	v_div_fixup_f64 v[20:21], v[30:31], v[38:39], v[20:21]
	v_div_scale_f64 v[30:31], s[6:7], v[38:39], v[38:39], v[28:29]
	v_add_f64 v[26:27], v[38:39], 1.0
	v_rcp_f64_e32 v[34:35], v[30:31]
	v_div_scale_f64 v[48:49], s[6:7], v[26:27], v[26:27], v[20:21]
	v_rcp_f64_e32 v[52:53], v[48:49]
	v_fma_f64 v[54:55], -v[30:31], v[34:35], 1.0
	v_fmac_f64_e32 v[34:35], v[34:35], v[54:55]
	v_fma_f64 v[64:65], -v[30:31], v[34:35], 1.0
	v_fma_f64 v[54:55], -v[48:49], v[52:53], 1.0
	v_div_scale_f64 v[32:33], vcc, v[28:29], v[38:39], v[28:29]
	v_fmac_f64_e32 v[52:53], v[52:53], v[54:55]
	v_fmac_f64_e32 v[34:35], v[34:35], v[64:65]
	v_fma_f64 v[54:55], -v[48:49], v[52:53], 1.0
	v_mul_f64 v[64:65], v[32:33], v[34:35]
	v_div_scale_f64 v[50:51], s[6:7], v[20:21], v[26:27], v[20:21]
	v_fmac_f64_e32 v[52:53], v[52:53], v[54:55]
	v_fma_f64 v[30:31], -v[30:31], v[64:65], v[32:33]
	v_mul_f64 v[32:33], v[50:51], v[52:53]
	v_div_fmas_f64 v[30:31], v[30:31], v[34:35], v[64:65]
	v_fma_f64 v[34:35], -v[48:49], v[32:33], v[50:51]
	v_div_fixup_f64 v[28:29], v[30:31], v[38:39], v[28:29]
	s_mov_b64 vcc, s[6:7]
	v_div_fmas_f64 v[30:31], v[34:35], v[52:53], v[32:33]
	v_add_f64 v[2:3], v[2:3], v[28:29]
	v_div_fixup_f64 v[20:21], v[30:31], v[26:27], v[20:21]
	v_div_scale_f64 v[30:31], s[6:7], v[2:3], v[2:3], v[28:29]
	v_rcp_f64_e32 v[32:33], v[30:31]
	v_div_scale_f64 v[34:35], vcc, v[28:29], v[2:3], v[28:29]
	v_add_f64 v[24:25], v[24:25], v[20:21]
	v_fma_f64 v[38:39], -v[30:31], v[32:33], 1.0
	v_fmac_f64_e32 v[32:33], v[32:33], v[38:39]
	v_fma_f64 v[38:39], -v[30:31], v[32:33], 1.0
	v_fmac_f64_e32 v[32:33], v[32:33], v[38:39]
	v_mul_f64 v[38:39], v[34:35], v[32:33]
	v_fma_f64 v[30:31], -v[30:31], v[38:39], v[34:35]
	v_div_fmas_f64 v[30:31], v[30:31], v[32:33], v[38:39]
	v_div_fixup_f64 v[30:31], v[30:31], v[2:3], v[28:29]
	v_cmp_ngt_f64_e64 s[6:7], |v[30:31]|, s[22:23]
	s_or_b64 s[20:21], s[6:7], s[20:21]
	s_andn2_b64 exec, exec, s[20:21]
	s_cbranch_execnz .LBB0_40
; %bb.41:
	s_or_b64 exec, exec, s[20:21]
	s_mov_b32 s6, 0x42b70f8b
	s_mov_b32 s7, 0xbfd0907f
	v_mul_f64 v[20:21], v[24:25], s[6:7]
	s_mov_b32 s6, 0x962715b8
	s_mov_b32 s7, 0x3fd6b8c7
	v_fmac_f64_e32 v[20:21], s[6:7], v[2:3]
	v_cndmask_b32_e64 v9, v9, v21, s[16:17]
	v_cndmask_b32_e64 v8, v8, v20, s[16:17]
.LBB0_42:
	s_or_b64 exec, exec, s[18:19]
                                        ; implicit-def: $vgpr20_vgpr21
.LBB0_43:
	s_andn2_saveexec_b64 s[14:15], s[14:15]
	s_cbranch_execz .LBB0_53
; %bb.44:
	s_mov_b32 s6, 0
	s_brev_b32 s7, 9
	v_cmp_lt_f64_e32 vcc, s[6:7], v[20:21]
	v_cndmask_b32_e64 v2, 0, 1, vcc
	v_lshlrev_b32_e32 v2, 8, v2
	v_ldexp_f64 v[2:3], -v[20:21], v2
	v_rsq_f64_e32 v[8:9], v[2:3]
	v_mov_b32_e32 v15, 0x260
	v_mul_f64 v[20:21], v[20:21], -2.0
	s_mov_b32 s16, 0
	v_mul_f64 v[22:23], v[2:3], v[8:9]
	v_mul_f64 v[8:9], v[8:9], 0.5
	v_fma_f64 v[24:25], -v[8:9], v[22:23], 0.5
	v_fmac_f64_e32 v[22:23], v[22:23], v[24:25]
	v_fma_f64 v[26:27], -v[22:23], v[22:23], v[2:3]
	v_fmac_f64_e32 v[8:9], v[8:9], v[24:25]
	v_fmac_f64_e32 v[22:23], v[26:27], v[8:9]
	v_fma_f64 v[24:25], -v[22:23], v[22:23], v[2:3]
	v_fmac_f64_e32 v[22:23], v[24:25], v[8:9]
	v_mov_b32_e32 v8, 0xffffff80
	v_cndmask_b32_e32 v8, 0, v8, vcc
	v_ldexp_f64 v[8:9], v[22:23], v8
	v_cmp_class_f64_e32 vcc, v[2:3], v15
	v_cndmask_b32_e32 v3, v9, v3, vcc
	v_cndmask_b32_e32 v2, v8, v2, vcc
	v_mul_f64 v[8:9], v[20:21], v[2:3]
	s_mov_b32 s17, 0x40080000
	v_div_scale_f64 v[20:21], s[6:7], s[16:17], s[16:17], v[8:9]
	v_rcp_f64_e32 v[22:23], v[20:21]
	s_mov_b32 s19, 0x3fe921fb
	s_mov_b32 s18, 0x54442d18
	s_movk_i32 s6, 0xff80
	v_fma_f64 v[24:25], -v[20:21], v[22:23], 1.0
	v_fmac_f64_e32 v[22:23], v[22:23], v[24:25]
	v_fma_f64 v[24:25], -v[20:21], v[22:23], 1.0
	v_fmac_f64_e32 v[22:23], v[22:23], v[24:25]
	v_div_scale_f64 v[24:25], vcc, v[8:9], s[16:17], v[8:9]
	v_mul_f64 v[26:27], v[24:25], v[22:23]
	v_fma_f64 v[20:21], -v[20:21], v[26:27], v[24:25]
                                        ; implicit-def: $vgpr37
                                        ; implicit-def: $vgpr28_vgpr29
	s_nop 1
	v_div_fmas_f64 v[20:21], v[20:21], v[22:23], v[26:27]
	v_div_fixup_f64 v[24:25], v[20:21], s[16:17], v[8:9]
	s_mov_b32 s16, 0
	v_add_f64 v[8:9], v[24:25], s[18:19]
	s_mov_b32 s17, 0x41d00000
	v_cmp_nlt_f64_e64 s[16:17], |v[8:9]|, s[16:17]
	v_trig_preop_f64 v[34:35], |v[8:9]|, 0
	v_trig_preop_f64 v[32:33], |v[8:9]|, 1
	v_trig_preop_f64 v[30:31], |v[8:9]|, 2
                                        ; implicit-def: $vgpr26_vgpr27
	s_and_saveexec_b64 s[20:21], s[16:17]
	s_xor_b64 s[20:21], exec, s[20:21]
	s_cbranch_execz .LBB0_46
; %bb.45:
	s_mov_b32 s22, 0
	s_mov_b32 s23, 0x7b000000
	v_and_b32_e32 v15, 0x7fffffff, v9
	v_ldexp_f64 v[20:21], |v[8:9]|, s6
	v_cmp_ge_f64_e64 vcc, |v[8:9]|, s[22:23]
	v_cndmask_b32_e32 v21, v15, v21, vcc
	v_cndmask_b32_e32 v20, v8, v20, vcc
	v_mul_f64 v[26:27], v[34:35], v[20:21]
	v_mul_f64 v[22:23], v[32:33], v[20:21]
	v_fma_f64 v[28:29], v[34:35], v[20:21], -v[26:27]
	v_add_f64 v[38:39], v[22:23], v[28:29]
	v_add_f64 v[48:49], v[26:27], v[38:39]
	s_mov_b32 s6, 0
	v_ldexp_f64 v[50:51], v[48:49], -2
	s_mov_b32 s7, 0x7ff00000
	v_fract_f64_e32 v[52:53], v[50:51]
	v_cmp_neq_f64_e64 vcc, |v[50:51]|, s[6:7]
	v_cndmask_b32_e32 v51, 0, v53, vcc
	v_cndmask_b32_e32 v50, 0, v52, vcc
	v_add_f64 v[52:53], v[38:39], -v[22:23]
	v_add_f64 v[28:29], v[28:29], -v[52:53]
	;; [unrolled: 1-line block ×4, first 2 shown]
	v_add_f64 v[28:29], v[28:29], v[52:53]
	v_fma_f64 v[22:23], v[32:33], v[20:21], -v[22:23]
	v_mul_f64 v[52:53], v[30:31], v[20:21]
	v_add_f64 v[64:65], v[52:53], v[22:23]
	v_add_f64 v[66:67], v[64:65], v[28:29]
	v_add_f64 v[26:27], v[48:49], -v[26:27]
	v_add_f64 v[48:49], v[66:67], -v[64:65]
	;; [unrolled: 1-line block ×5, first 2 shown]
	v_add_f64 v[28:29], v[28:29], v[48:49]
	v_add_f64 v[48:49], v[64:65], -v[52:53]
	v_add_f64 v[22:23], v[22:23], -v[48:49]
	;; [unrolled: 1-line block ×5, first 2 shown]
	v_add_f64 v[38:39], v[26:27], v[66:67]
	v_add_f64 v[22:23], v[22:23], v[48:49]
	v_add_f64 v[26:27], v[38:39], -v[26:27]
	v_add_f64 v[22:23], v[22:23], v[28:29]
	v_fma_f64 v[20:21], v[30:31], v[20:21], -v[52:53]
	v_add_f64 v[26:27], v[66:67], -v[26:27]
	v_add_f64 v[20:21], v[20:21], v[22:23]
	v_ldexp_f64 v[22:23], v[50:51], 2
	v_add_f64 v[20:21], v[26:27], v[20:21]
	v_add_f64 v[26:27], v[38:39], v[22:23]
	v_mov_b32_e32 v15, 0x40100000
	v_cmp_gt_f64_e32 vcc, 0, v[26:27]
	v_mov_b32_e32 v54, 0
	v_cndmask_b32_e32 v55, 0, v15, vcc
	v_add_f64 v[22:23], v[22:23], v[54:55]
	v_add_f64 v[26:27], v[38:39], v[22:23]
	v_cvt_i32_f64_e32 v15, v[26:27]
	v_cvt_f64_i32_e32 v[26:27], v15
	v_add_f64 v[22:23], v[22:23], -v[26:27]
	v_add_f64 v[26:27], v[38:39], v[22:23]
	v_cmp_le_f64_e32 vcc, 0.5, v[26:27]
	v_add_f64 v[22:23], v[26:27], -v[22:23]
	v_addc_co_u32_e64 v37, s[6:7], 0, v15, vcc
	v_mov_b32_e32 v15, 0x3ff00000
	v_add_f64 v[22:23], v[38:39], -v[22:23]
	v_cndmask_b32_e32 v55, 0, v15, vcc
	v_add_f64 v[20:21], v[20:21], v[22:23]
	v_add_f64 v[22:23], v[26:27], -v[54:55]
	v_add_f64 v[26:27], v[22:23], v[20:21]
	v_add_f64 v[22:23], v[26:27], -v[22:23]
	s_mov_b32 s19, 0x3ff921fb
	v_add_f64 v[20:21], v[20:21], -v[22:23]
	v_mul_f64 v[22:23], v[26:27], s[18:19]
	s_mov_b32 s6, 0x33145c07
	v_fma_f64 v[28:29], v[26:27], s[18:19], -v[22:23]
	s_mov_b32 s7, 0x3c91a626
	v_fmac_f64_e32 v[28:29], s[6:7], v[26:27]
	v_fmac_f64_e32 v[28:29], s[18:19], v[20:21]
	v_add_f64 v[26:27], v[22:23], v[28:29]
	v_add_f64 v[20:21], v[26:27], -v[22:23]
	v_add_f64 v[28:29], v[28:29], -v[20:21]
	s_andn2_saveexec_b64 s[6:7], s[20:21]
	s_cbranch_execz .LBB0_48
	s_branch .LBB0_47
.LBB0_46:
	s_andn2_saveexec_b64 s[6:7], s[20:21]
	s_cbranch_execz .LBB0_48
.LBB0_47:
	s_mov_b32 s18, 0x6dc9c883
	s_mov_b32 s19, 0x3fe45f30
	v_mul_f64 v[20:21], |v[8:9]|, s[18:19]
	s_mov_b32 s18, 0x54442d18
	v_rndne_f64_e32 v[20:21], v[20:21]
	s_mov_b32 s19, 0xbff921fb
	v_fma_f64 v[22:23], v[20:21], s[18:19], |v[8:9]|
	s_mov_b32 s19, 0xbc91a626
	s_mov_b32 s18, 0x33145c00
	v_mul_f64 v[26:27], v[20:21], s[18:19]
	v_add_f64 v[48:49], v[22:23], v[26:27]
	v_fma_f64 v[28:29], s[18:19], v[20:21], v[22:23]
	s_mov_b32 s19, 0x3c91a626
	v_add_f64 v[22:23], v[22:23], -v[48:49]
	v_fma_f64 v[38:39], s[18:19], v[20:21], v[26:27]
	v_add_f64 v[22:23], v[22:23], v[26:27]
	v_add_f64 v[26:27], v[48:49], -v[28:29]
	v_add_f64 v[22:23], v[26:27], v[22:23]
	s_mov_b32 s18, 0x252049c0
	v_add_f64 v[22:23], v[22:23], -v[38:39]
	s_mov_b32 s19, 0xb97b839a
	v_fmac_f64_e32 v[22:23], s[18:19], v[20:21]
	v_add_f64 v[26:27], v[28:29], v[22:23]
	v_add_f64 v[28:29], v[26:27], -v[28:29]
	v_add_f64 v[28:29], v[22:23], -v[28:29]
	v_cvt_i32_f64_e32 v37, v[20:21]
.LBB0_48:
	s_or_b64 exec, exec, s[6:7]
                                        ; implicit-def: $vgpr15
                                        ; implicit-def: $vgpr20_vgpr21
                                        ; implicit-def: $vgpr22_vgpr23
	s_and_saveexec_b64 s[6:7], s[16:17]
	s_xor_b64 s[16:17], exec, s[6:7]
	s_cbranch_execz .LBB0_50
; %bb.49:
	s_mov_b32 s6, 0
	s_mov_b32 s7, 0x7b000000
	s_movk_i32 s18, 0xff80
	v_and_b32_e32 v15, 0x7fffffff, v9
	v_ldexp_f64 v[20:21], |v[8:9]|, s18
	v_cmp_ge_f64_e64 vcc, |v[8:9]|, s[6:7]
	v_cndmask_b32_e32 v21, v15, v21, vcc
	v_cndmask_b32_e32 v20, v8, v20, vcc
	v_mul_f64 v[38:39], v[34:35], v[20:21]
	v_mul_f64 v[22:23], v[32:33], v[20:21]
	v_fma_f64 v[34:35], v[34:35], v[20:21], -v[38:39]
	v_add_f64 v[48:49], v[22:23], v[34:35]
	v_add_f64 v[50:51], v[38:39], v[48:49]
	s_mov_b32 s6, 0
	v_ldexp_f64 v[52:53], v[50:51], -2
	s_mov_b32 s7, 0x7ff00000
	v_fract_f64_e32 v[54:55], v[52:53]
	v_cmp_neq_f64_e64 vcc, |v[52:53]|, s[6:7]
	v_cndmask_b32_e32 v53, 0, v55, vcc
	v_cndmask_b32_e32 v52, 0, v54, vcc
	v_add_f64 v[54:55], v[48:49], -v[22:23]
	v_add_f64 v[34:35], v[34:35], -v[54:55]
	;; [unrolled: 1-line block ×4, first 2 shown]
	v_fma_f64 v[22:23], v[32:33], v[20:21], -v[22:23]
	v_mul_f64 v[32:33], v[30:31], v[20:21]
	v_add_f64 v[34:35], v[34:35], v[54:55]
	v_add_f64 v[54:55], v[32:33], v[22:23]
	v_add_f64 v[66:67], v[54:55], v[34:35]
	v_add_f64 v[38:39], v[50:51], -v[38:39]
	v_add_f64 v[50:51], v[66:67], -v[54:55]
	;; [unrolled: 1-line block ×5, first 2 shown]
	v_add_f64 v[34:35], v[34:35], v[50:51]
	v_add_f64 v[50:51], v[54:55], -v[32:33]
	v_add_f64 v[22:23], v[22:23], -v[50:51]
	;; [unrolled: 1-line block ×4, first 2 shown]
	v_add_f64 v[22:23], v[22:23], v[50:51]
	v_add_f64 v[38:39], v[48:49], -v[38:39]
	v_add_f64 v[22:23], v[22:23], v[34:35]
	v_fma_f64 v[20:21], v[30:31], v[20:21], -v[32:33]
	v_add_f64 v[48:49], v[38:39], v[66:67]
	v_add_f64 v[20:21], v[20:21], v[22:23]
	v_ldexp_f64 v[22:23], v[52:53], 2
	v_add_f64 v[30:31], v[48:49], v[22:23]
	v_mov_b32_e32 v15, 0x40100000
	v_cmp_gt_f64_e32 vcc, 0, v[30:31]
	v_mov_b32_e32 v64, 0
	v_cndmask_b32_e32 v65, 0, v15, vcc
	v_add_f64 v[22:23], v[22:23], v[64:65]
	v_add_f64 v[30:31], v[48:49], v[22:23]
	v_cvt_i32_f64_e32 v15, v[30:31]
	v_cvt_f64_i32_e32 v[30:31], v15
	v_add_f64 v[22:23], v[22:23], -v[30:31]
	v_add_f64 v[38:39], v[48:49], -v[38:39]
	v_add_f64 v[30:31], v[48:49], v[22:23]
	v_add_f64 v[38:39], v[66:67], -v[38:39]
	v_add_f64 v[22:23], v[30:31], -v[22:23]
	v_add_f64 v[20:21], v[38:39], v[20:21]
	v_add_f64 v[22:23], v[48:49], -v[22:23]
	v_add_f64 v[20:21], v[20:21], v[22:23]
	v_cmp_le_f64_e32 vcc, 0.5, v[30:31]
	v_mov_b32_e32 v22, 0x3ff00000
	v_cndmask_b32_e32 v65, 0, v22, vcc
	v_addc_co_u32_e64 v15, s[6:7], 0, v15, vcc
	v_add_f64 v[22:23], v[30:31], -v[64:65]
	v_add_f64 v[30:31], v[22:23], v[20:21]
	s_mov_b32 s6, 0x54442d18
	v_add_f64 v[22:23], v[30:31], -v[22:23]
	s_mov_b32 s7, 0x3ff921fb
	v_add_f64 v[20:21], v[20:21], -v[22:23]
	v_mul_f64 v[22:23], v[30:31], s[6:7]
	s_mov_b32 s18, 0x33145c07
	v_fma_f64 v[32:33], v[30:31], s[6:7], -v[22:23]
	s_mov_b32 s19, 0x3c91a626
	v_fmac_f64_e32 v[32:33], s[18:19], v[30:31]
	v_fmac_f64_e32 v[32:33], s[6:7], v[20:21]
	v_add_f64 v[20:21], v[22:23], v[32:33]
	v_add_f64 v[22:23], v[20:21], -v[22:23]
	v_add_f64 v[22:23], v[32:33], -v[22:23]
	s_andn2_saveexec_b64 s[6:7], s[16:17]
	s_cbranch_execnz .LBB0_51
	s_branch .LBB0_52
.LBB0_50:
	s_andn2_saveexec_b64 s[6:7], s[16:17]
	s_cbranch_execz .LBB0_52
.LBB0_51:
	s_mov_b32 s16, 0x6dc9c883
	s_mov_b32 s17, 0x3fe45f30
	v_mul_f64 v[20:21], |v[8:9]|, s[16:17]
	s_mov_b32 s16, 0x54442d18
	v_rndne_f64_e32 v[30:31], v[20:21]
	s_mov_b32 s17, 0xbff921fb
	v_fma_f64 v[20:21], v[30:31], s[16:17], |v[8:9]|
	s_mov_b32 s17, 0xbc91a626
	s_mov_b32 s16, 0x33145c00
	v_mul_f64 v[32:33], v[30:31], s[16:17]
	v_add_f64 v[38:39], v[20:21], v[32:33]
	v_fma_f64 v[22:23], s[16:17], v[30:31], v[20:21]
	s_mov_b32 s17, 0x3c91a626
	v_add_f64 v[20:21], v[20:21], -v[38:39]
	v_fma_f64 v[34:35], s[16:17], v[30:31], v[32:33]
	v_add_f64 v[20:21], v[20:21], v[32:33]
	v_add_f64 v[32:33], v[38:39], -v[22:23]
	v_add_f64 v[20:21], v[32:33], v[20:21]
	s_mov_b32 s16, 0x252049c0
	v_add_f64 v[32:33], v[20:21], -v[34:35]
	s_mov_b32 s17, 0xb97b839a
	v_fmac_f64_e32 v[32:33], s[16:17], v[30:31]
	v_add_f64 v[20:21], v[22:23], v[32:33]
	v_add_f64 v[22:23], v[20:21], -v[22:23]
	v_add_f64 v[22:23], v[32:33], -v[22:23]
	v_cvt_i32_f64_e32 v15, v[30:31]
.LBB0_52:
	s_or_b64 exec, exec, s[6:7]
	v_div_scale_f64 v[30:31], s[6:7], v[24:25], v[24:25], 1.0
	v_rcp_f64_e32 v[32:33], v[30:31]
	v_div_scale_f64 v[34:35], vcc, 1.0, v[24:25], 1.0
	v_mov_b32_e32 v48, 0xb99518a7
	v_fma_f64 v[38:39], -v[30:31], v[32:33], 1.0
	v_fmac_f64_e32 v[32:33], v[32:33], v[38:39]
	v_fma_f64 v[38:39], -v[30:31], v[32:33], 1.0
	v_fmac_f64_e32 v[32:33], v[32:33], v[38:39]
	v_mul_f64 v[38:39], v[34:35], v[32:33]
	v_fma_f64 v[30:31], -v[30:31], v[38:39], v[34:35]
	v_div_fmas_f64 v[30:31], v[30:31], v[32:33], v[38:39]
	v_div_fixup_f64 v[24:25], v[30:31], v[24:25], 1.0
	v_mul_f64 v[30:31], v[24:25], v[24:25]
	v_mov_b32_e32 v32, 0xd50ae6fb
	v_mov_b32_e32 v33, 0xbfc0db6c
	v_fmac_f64_e32 v[32:33], 0, v[30:31]
	v_mov_b32_e32 v34, 0x98566852
	v_mov_b32_e32 v35, 0xbfe40bee
	v_fmac_f64_e32 v[34:35], v[30:31], v[32:33]
	v_mov_b32_e32 v32, 0xc2f79f7d
	v_mov_b32_e32 v33, 0xbfe62e59
	v_fmac_f64_e32 v[32:33], v[30:31], v[34:35]
	v_mov_b32_e32 v34, 0x4bb3f40b
	v_mov_b32_e32 v35, 0xbfd1e7ea
	v_fmac_f64_e32 v[34:35], v[30:31], v[32:33]
	v_mov_b32_e32 v32, 0xf47dbd8a
	v_mov_b32_e32 v33, 0xbfa92f6e
	v_fmac_f64_e32 v[32:33], v[30:31], v[34:35]
	v_mov_b32_e32 v34, 0xc8d9e090
	v_mov_b32_e32 v35, 0xbf70a401
	v_fmac_f64_e32 v[34:35], v[30:31], v[32:33]
	v_mov_b32_e32 v32, 0xaf4b009c
	v_mov_b32_e32 v33, 0xbf24e06e
	v_fmac_f64_e32 v[32:33], v[30:31], v[34:35]
	v_mov_b32_e32 v34, 0x1d42366d
	v_mov_b32_e32 v35, 0xbec74a78
	v_fmac_f64_e32 v[34:35], v[30:31], v[32:33]
	v_mov_b32_e32 v32, 0x2572edf2
	v_mov_b32_e32 v33, 0x402ab64b
	v_fmac_f64_e32 v[32:33], 0, v[30:31]
	v_mov_b32_e32 v38, 0x44787b1a
	v_mov_b32_e32 v39, 0x4040575c
	v_fmac_f64_e32 v[38:39], v[30:31], v[32:33]
	v_mov_b32_e32 v32, 0xa3b73410
	v_mov_b32_e32 v33, 0x403abc98
	v_fmac_f64_e32 v[32:33], v[30:31], v[38:39]
	v_mov_b32_e32 v38, 0x2ac99873
	v_mov_b32_e32 v39, 0x40225fc8
	v_fmac_f64_e32 v[38:39], v[30:31], v[32:33]
	v_mov_b32_e32 v32, 0x39de9319
	v_mov_b32_e32 v33, 0x3ff79acb
	v_fmac_f64_e32 v[32:33], v[30:31], v[38:39]
	v_mov_b32_e32 v38, 0xb4045a2b
	v_mov_b32_e32 v39, 0x3fbd9dac
	v_fmac_f64_e32 v[38:39], v[30:31], v[32:33]
	v_mov_b32_e32 v32, 0xe03af617
	v_mov_b32_e32 v33, 0x3f7208ca
	v_fmac_f64_e32 v[32:33], v[30:31], v[38:39]
	v_mov_b32_e32 v38, 0xaf76e73b
	v_mov_b32_e32 v39, 0x3f13c8d7
	v_fmac_f64_e32 v[38:39], v[30:31], v[32:33]
	v_mov_b32_e32 v49, 0x3e9e52b9
	v_mul_f64 v[50:51], v[26:27], v[26:27]
	v_fmac_f64_e32 v[48:49], v[30:31], v[38:39]
	v_mov_b32_e32 v38, 0xf68ea2d2
	v_mov_b32_e32 v39, 0xbe52041c
	v_mul_f64 v[32:33], v[50:51], 0.5
	v_fmac_f64_e32 v[38:39], v[30:31], v[34:35]
	v_add_f64 v[34:35], -v[32:33], 1.0
	s_mov_b32 s6, 0x9037ab78
	v_add_f64 v[52:53], -v[34:35], 1.0
	s_mov_b32 s7, 0x3e21eeb6
	s_mov_b32 s16, 0x46cc5e42
	v_add_f64 v[52:53], v[52:53], -v[32:33]
	s_mov_b32 s17, 0xbda907db
	v_pk_mov_b32 v[32:33], s[6:7], s[6:7] op_sel:[0,1]
	s_mov_b32 s18, 0xa17f65f6
	v_fma_f64 v[64:65], s[16:17], v[50:51], v[32:33]
	s_mov_b32 s19, 0xbe927e4f
	s_mov_b32 s20, 0x19f4ec90
	v_fma_f64 v[64:65], v[50:51], v[64:65], s[18:19]
	s_mov_b32 s21, 0x3efa01a0
	;; [unrolled: 3-line block ×4, first 2 shown]
	v_mul_f64 v[54:55], v[50:51], v[50:51]
	v_fma_f64 v[64:65], v[50:51], v[64:65], s[24:25]
	v_fma_f64 v[52:53], v[26:27], -v[28:29], v[52:53]
	s_mov_b32 s6, 0xb42fdfa7
	v_fmac_f64_e32 v[52:53], v[54:55], v[64:65]
	s_mov_b32 s7, 0xbe5ae600
	s_mov_b32 s26, 0xf9a43bb8
	v_add_f64 v[52:53], v[34:35], v[52:53]
	s_mov_b32 s27, 0x3de5e0b2
	v_pk_mov_b32 v[34:35], s[6:7], s[6:7] op_sel:[0,1]
	s_mov_b32 s28, 0x796cde01
	v_fma_f64 v[54:55], s[26:27], v[50:51], v[34:35]
	s_mov_b32 s29, 0x3ec71de3
	s_mov_b32 s30, 0x19e83e5c
	v_fma_f64 v[54:55], v[50:51], v[54:55], s[28:29]
	s_mov_b32 s31, 0xbf2a01a0
	;; [unrolled: 3-line block ×3, first 2 shown]
	v_fma_f64 v[54:55], v[50:51], v[54:55], s[34:35]
	v_mul_f64 v[64:65], v[26:27], -v[50:51]
	v_mul_f64 v[66:67], v[28:29], 0.5
	v_fmac_f64_e32 v[66:67], v[64:65], v[54:55]
	v_fma_f64 v[28:29], v[50:51], v[66:67], -v[28:29]
	s_mov_b32 s37, 0xbfc55555
	s_mov_b32 s36, s24
	v_fmac_f64_e32 v[28:29], s[36:37], v[64:65]
	v_add_f64 v[26:27], v[26:27], -v[28:29]
	v_and_b32_e32 v28, 1, v37
	v_cmp_eq_u32_e32 vcc, 0, v28
	v_cndmask_b32_e32 v50, v52, v26, vcc
	v_cndmask_b32_e32 v26, v53, v27, vcc
	v_lshlrev_b32_e32 v27, 30, v37
	v_xor_b32_e32 v27, v27, v9
	v_and_b32_e32 v27, 0x80000000, v27
	v_xor_b32_e32 v37, v26, v27
	v_mul_f64 v[26:27], v[30:31], v[38:39]
	v_div_scale_f64 v[28:29], s[6:7], v[48:49], v[48:49], v[26:27]
	v_rcp_f64_e32 v[38:39], v[28:29]
	s_movk_i32 vcc_lo, 0x1f8
	v_cmp_class_f64_e64 s[6:7], v[8:9], vcc_lo
	v_cndmask_b32_e64 v8, 0, v50, s[6:7]
	v_fma_f64 v[50:51], -v[28:29], v[38:39], 1.0
	v_fmac_f64_e32 v[38:39], v[38:39], v[50:51]
	v_fma_f64 v[50:51], -v[28:29], v[38:39], 1.0
	v_fmac_f64_e32 v[38:39], v[38:39], v[50:51]
	v_div_scale_f64 v[50:51], vcc, v[26:27], v[48:49], v[26:27]
	v_mul_f64 v[52:53], v[50:51], v[38:39]
	v_fma_f64 v[28:29], -v[28:29], v[52:53], v[50:51]
	v_mov_b32_e32 v64, 0x7ff80000
	s_nop 0
	v_div_fmas_f64 v[28:29], v[28:29], v[38:39], v[52:53]
	v_div_fixup_f64 v[26:27], v[28:29], v[48:49], v[26:27]
	v_mov_b32_e32 v28, 0xddcfbbde
	v_mov_b32_e32 v29, 0x3f943525
	v_fmac_f64_e32 v[28:29], 0, v[30:31]
	v_mov_b32_e32 v38, 0x6437b7
	v_mov_b32_e32 v39, 0x3fd907d5
	v_fmac_f64_e32 v[38:39], v[30:31], v[28:29]
	;; [unrolled: 3-line block ×13, first 2 shown]
	v_mov_b32_e32 v38, 0x7ea7dc35
	v_mov_b32_e32 v39, 0x402f211b
	s_mov_b32 vcc_lo, 0
	v_fmac_f64_e32 v[38:39], v[30:31], v[48:49]
	v_mov_b32_e32 v48, 0x2b79dbce
	v_mov_b32_e32 v49, 0x4015e84e
	s_brev_b32 vcc_hi, 8
	v_fmac_f64_e32 v[48:49], v[30:31], v[38:39]
	v_mov_b32_e32 v38, 0xc195ece3
	v_mov_b32_e32 v39, 0x3fee8992
	v_cmp_gt_f64_e32 vcc, vcc, v[2:3]
	v_cndmask_b32_e64 v9, v64, v37, s[6:7]
	v_fmac_f64_e32 v[38:39], v[30:31], v[48:49]
	v_mov_b32_e32 v48, 0xed64a9ee
	v_mov_b32_e32 v49, 0x3fb6221d
	v_cndmask_b32_e64 v37, 0, 1, vcc
	v_fmac_f64_e32 v[48:49], v[30:31], v[38:39]
	v_mov_b32_e32 v38, 0x6be393bb
	v_mov_b32_e32 v39, 0x3f70e704
	v_lshlrev_b32_e32 v37, 8, v37
	v_fmac_f64_e32 v[38:39], v[30:31], v[48:49]
	v_mov_b32_e32 v48, 0xd603a5a0
	v_mov_b32_e32 v49, 0x3f1a8b61
	v_ldexp_f64 v[2:3], v[2:3], v37
	v_fmac_f64_e32 v[48:49], v[30:31], v[38:39]
	v_rsq_f64_e32 v[38:39], v[2:3]
	v_mov_b32_e32 v50, 0xdb0724e8
	v_mov_b32_e32 v51, 0x3eb3a845
	v_fmac_f64_e32 v[50:51], v[30:31], v[48:49]
	v_mul_f64 v[48:49], v[2:3], v[38:39]
	v_mul_f64 v[38:39], v[38:39], 0.5
	v_fma_f64 v[52:53], -v[38:39], v[48:49], 0.5
	v_fmac_f64_e32 v[48:49], v[48:49], v[52:53]
	v_fma_f64 v[54:55], -v[48:49], v[48:49], v[2:3]
	v_fmac_f64_e32 v[38:39], v[38:39], v[52:53]
	v_fmac_f64_e32 v[48:49], v[54:55], v[38:39]
	v_fma_f64 v[52:53], -v[48:49], v[48:49], v[2:3]
	v_mov_b32_e32 v37, 0xffffff80
	v_fmac_f64_e32 v[48:49], v[52:53], v[38:39]
	v_cndmask_b32_e32 v37, 0, v37, vcc
	v_ldexp_f64 v[38:39], v[48:49], v37
	v_mov_b32_e32 v37, 0x260
	v_cmp_class_f64_e32 vcc, v[2:3], v37
	s_mov_b32 s40, 0x50429b6d
	v_cndmask_b32_e32 v3, v39, v3, vcc
	v_cndmask_b32_e32 v2, v38, v2, vcc
	s_mov_b32 s41, 0x3fe20dd7
	v_div_scale_f64 v[38:39], vcc, v[2:3], v[2:3], s[40:41]
	v_rcp_f64_e32 v[48:49], v[38:39]
	v_mov_b32_e32 v52, 0x3dd589d4
	v_mov_b32_e32 v53, 0x3e351fc7
	v_fmac_f64_e32 v[52:53], v[30:31], v[50:51]
	v_fma_f64 v[30:31], -v[38:39], v[48:49], 1.0
	v_fmac_f64_e32 v[48:49], v[48:49], v[30:31]
	v_fma_f64 v[30:31], -v[38:39], v[48:49], 1.0
	v_fmac_f64_e32 v[48:49], v[48:49], v[30:31]
	v_div_scale_f64 v[30:31], vcc, s[40:41], v[2:3], s[40:41]
	v_mul_f64 v[50:51], v[30:31], v[48:49]
	v_fma_f64 v[30:31], -v[38:39], v[50:51], v[30:31]
	v_add_f64 v[26:27], v[26:27], 1.0
	s_nop 0
	v_div_fmas_f64 v[30:31], v[30:31], v[48:49], v[50:51]
	v_div_fixup_f64 v[2:3], v[30:31], v[2:3], s[40:41]
	v_mul_f64 v[30:31], v[20:21], v[20:21]
	v_mul_f64 v[38:39], v[30:31], 0.5
	v_fmac_f64_e32 v[32:33], s[16:17], v[30:31]
	v_add_f64 v[48:49], -v[38:39], 1.0
	v_fma_f64 v[32:33], v[30:31], v[32:33], s[18:19]
	v_add_f64 v[50:51], -v[48:49], 1.0
	v_fma_f64 v[32:33], v[30:31], v[32:33], s[20:21]
	v_add_f64 v[38:39], v[50:51], -v[38:39]
	v_fma_f64 v[32:33], v[30:31], v[32:33], s[22:23]
	v_fmac_f64_e32 v[34:35], s[26:27], v[30:31]
	v_mul_f64 v[50:51], v[30:31], v[30:31]
	v_fma_f64 v[32:33], v[30:31], v[32:33], s[24:25]
	v_fma_f64 v[38:39], v[20:21], -v[22:23], v[38:39]
	v_fma_f64 v[34:35], v[30:31], v[34:35], s[28:29]
	v_fmac_f64_e32 v[38:39], v[50:51], v[32:33]
	v_fma_f64 v[34:35], v[30:31], v[34:35], s[30:31]
	v_add_f64 v[32:33], v[48:49], v[38:39]
	v_fma_f64 v[34:35], v[30:31], v[34:35], s[34:35]
	v_mul_f64 v[38:39], v[20:21], -v[30:31]
	v_mul_f64 v[48:49], v[22:23], 0.5
	v_fmac_f64_e32 v[48:49], v[38:39], v[34:35]
	v_fma_f64 v[22:23], v[30:31], v[48:49], -v[22:23]
	v_fmac_f64_e32 v[22:23], s[36:37], v[38:39]
	v_add_f64 v[20:21], v[20:21], -v[22:23]
	v_and_b32_e32 v22, 1, v15
	v_xor_b32_e32 v21, 0x80000000, v21
	v_cmp_eq_u32_e32 vcc, 0, v22
	v_cndmask_b32_e32 v30, v20, v32, vcc
	v_cndmask_b32_e32 v31, v21, v33, vcc
	v_mul_f64 v[20:21], v[24:25], v[28:29]
	v_div_scale_f64 v[22:23], s[16:17], v[52:53], v[52:53], v[20:21]
	v_rcp_f64_e32 v[24:25], v[22:23]
	v_lshlrev_b32_e32 v15, 30, v15
	v_and_b32_e32 v15, 0x80000000, v15
	v_xor_b32_e32 v15, v31, v15
	v_cndmask_b32_e64 v28, 0, v30, s[6:7]
	v_fma_f64 v[30:31], -v[22:23], v[24:25], 1.0
	v_fmac_f64_e32 v[24:25], v[24:25], v[30:31]
	v_fma_f64 v[30:31], -v[22:23], v[24:25], 1.0
	v_fmac_f64_e32 v[24:25], v[24:25], v[30:31]
	v_div_scale_f64 v[30:31], vcc, v[20:21], v[52:53], v[20:21]
	v_mul_f64 v[32:33], v[30:31], v[24:25]
	v_fma_f64 v[22:23], -v[22:23], v[32:33], v[30:31]
	v_cndmask_b32_e64 v29, v64, v15, s[6:7]
	s_nop 0
	v_div_fmas_f64 v[22:23], v[22:23], v[24:25], v[32:33]
	v_div_fixup_f64 v[20:21], v[22:23], v[52:53], v[20:21]
	v_mul_f64 v[20:21], v[20:21], v[28:29]
	v_fma_f64 v[8:9], v[26:27], v[8:9], -v[20:21]
	v_mul_f64 v[8:9], v[2:3], v[8:9]
.LBB0_53:
	s_or_b64 exec, exec, s[14:15]
.LBB0_54:
	s_or_b64 exec, exec, s[12:13]
.LBB0_55:
	s_or_b64 exec, exec, s[10:11]
.LBB0_56:
	s_or_b64 exec, exec, s[8:9]
	v_add_u32_e32 v2, 0x200, v5
	v_cmp_lt_i32_e32 vcc, v2, v4
	s_and_saveexec_b64 s[8:9], vcc
	s_cbranch_execz .LBB0_80
; %bb.57:
	s_mov_b32 s6, 0
	s_mov_b32 s7, 0x7ff00000
	v_mov_b32_e32 v10, 0
	s_waitcnt vmcnt(0) lgkmcnt(0)
	v_cmp_neq_f64_e64 s[6:7], |v[18:19]|, s[6:7]
	v_mov_b32_e32 v11, 0x7ff80000
	s_and_saveexec_b64 s[10:11], s[6:7]
	s_cbranch_execz .LBB0_79
; %bb.58:
	s_mov_b32 s6, 0x872b020c
	s_mov_b32 s7, 0x4059f916
	v_cmp_nlt_f64_e32 vcc, s[6:7], v[18:19]
	v_pk_mov_b32 v[10:11], 0, 0
	s_and_saveexec_b64 s[12:13], vcc
	s_cbranch_execz .LBB0_78
; %bb.59:
	s_mov_b32 s7, 0xc000b851
	s_mov_b32 s6, 0xeb851eb8
	v_cmp_ngt_f64_e32 vcc, s[6:7], v[18:19]
	s_and_saveexec_b64 s[14:15], vcc
	s_xor_b64 s[14:15], exec, s[14:15]
	s_cbranch_execz .LBB0_67
; %bb.60:
	s_mov_b32 s7, 0x4000b851
	v_cmp_nle_f64_e64 s[16:17], s[6:7], v[18:19]
	v_cmp_le_f64_e32 vcc, s[6:7], v[18:19]
	v_pk_mov_b32 v[10:11], 0, 0
	s_mov_b64 s[6:7], s[16:17]
	s_and_saveexec_b64 s[18:19], vcc
	s_cbranch_execz .LBB0_62
; %bb.61:
	s_mov_b32 s6, 0
	s_brev_b32 s7, 8
	v_cmp_gt_f64_e32 vcc, s[6:7], v[18:19]
	v_cndmask_b32_e64 v2, 0, 1, vcc
	v_lshlrev_b32_e32 v2, 8, v2
	v_ldexp_f64 v[2:3], v[18:19], v2
	v_rsq_f64_e32 v[10:11], v[2:3]
	v_mov_b32_e32 v15, 0xffffff80
	v_mov_b32_e32 v32, 0x260
	v_add_f64 v[20:21], v[18:19], v[18:19]
	v_mul_f64 v[22:23], v[2:3], v[10:11]
	v_mul_f64 v[10:11], v[10:11], 0.5
	v_fma_f64 v[24:25], -v[10:11], v[22:23], 0.5
	v_fmac_f64_e32 v[22:23], v[22:23], v[24:25]
	v_fma_f64 v[26:27], -v[22:23], v[22:23], v[2:3]
	v_fmac_f64_e32 v[10:11], v[10:11], v[24:25]
	v_fmac_f64_e32 v[22:23], v[26:27], v[10:11]
	v_fma_f64 v[24:25], -v[22:23], v[22:23], v[2:3]
	v_fmac_f64_e32 v[22:23], v[24:25], v[10:11]
	v_cndmask_b32_e32 v10, 0, v15, vcc
	v_ldexp_f64 v[10:11], v[22:23], v10
	v_cmp_class_f64_e32 vcc, v[2:3], v32
	v_cndmask_b32_e32 v3, v11, v3, vcc
	v_cndmask_b32_e32 v2, v10, v2, vcc
	s_mov_b32 s20, 0
	v_mul_f64 v[10:11], v[20:21], v[2:3]
	s_mov_b32 s21, 0x40080000
	v_div_scale_f64 v[20:21], s[22:23], s[20:21], s[20:21], v[10:11]
	v_rcp_f64_e32 v[22:23], v[20:21]
	v_fma_f64 v[24:25], -v[20:21], v[22:23], 1.0
	v_fmac_f64_e32 v[22:23], v[22:23], v[24:25]
	v_fma_f64 v[24:25], -v[20:21], v[22:23], 1.0
	v_fmac_f64_e32 v[22:23], v[22:23], v[24:25]
	v_div_scale_f64 v[24:25], vcc, v[10:11], s[20:21], v[10:11]
	v_mul_f64 v[26:27], v[24:25], v[22:23]
	v_fma_f64 v[20:21], -v[20:21], v[26:27], v[24:25]
	s_nop 1
	v_div_fmas_f64 v[20:21], v[20:21], v[22:23], v[26:27]
	v_div_fixup_f64 v[10:11], v[20:21], s[20:21], v[10:11]
	v_div_scale_f64 v[20:21], s[20:21], v[10:11], v[10:11], 1.0
	v_rcp_f64_e32 v[22:23], v[20:21]
	v_fma_f64 v[24:25], -v[20:21], v[22:23], 1.0
	v_fmac_f64_e32 v[22:23], v[22:23], v[24:25]
	v_fma_f64 v[24:25], -v[20:21], v[22:23], 1.0
	v_fmac_f64_e32 v[22:23], v[22:23], v[24:25]
	v_div_scale_f64 v[24:25], vcc, 1.0, v[10:11], 1.0
	v_mul_f64 v[26:27], v[24:25], v[22:23]
	v_fma_f64 v[20:21], -v[20:21], v[26:27], v[24:25]
	v_mov_b32_e32 v24, 0x871a9067
	s_nop 0
	v_div_fmas_f64 v[20:21], v[20:21], v[22:23], v[26:27]
	v_div_fixup_f64 v[20:21], v[20:21], v[10:11], 1.0
	v_mov_b32_e32 v22, 0x2537b658
	v_mov_b32_e32 v23, 0x3fd62dae
	v_fmac_f64_e32 v[22:23], 0, v[20:21]
	v_mov_b32_e32 v25, 0x402803e3
	v_fmac_f64_e32 v[24:25], v[20:21], v[22:23]
	v_mov_b32_e32 v22, 0xde2e1e3
	v_mov_b32_e32 v23, 0x405311e5
	v_fmac_f64_e32 v[22:23], v[20:21], v[24:25]
	v_mov_b32_e32 v24, 0xee40073c
	;; [unrolled: 3-line block ×12, first 2 shown]
	v_mov_b32_e32 v25, 0x402c311b
	v_fmac_f64_e32 v[24:25], v[20:21], v[26:27]
	v_fma_f64 v[24:25], v[20:21], v[24:25], 1.0
	v_fma_f64 v[20:21], v[20:21], v[22:23], 1.0
	v_div_scale_f64 v[22:23], s[20:21], v[24:25], v[24:25], v[20:21]
	v_rcp_f64_e32 v[26:27], v[22:23]
	v_fma_f64 v[28:29], -v[22:23], v[26:27], 1.0
	v_fmac_f64_e32 v[26:27], v[26:27], v[28:29]
	v_fma_f64 v[28:29], -v[22:23], v[26:27], 1.0
	v_fmac_f64_e32 v[26:27], v[26:27], v[28:29]
	v_div_scale_f64 v[28:29], vcc, v[20:21], v[24:25], v[20:21]
	v_mul_f64 v[30:31], v[28:29], v[26:27]
	v_fma_f64 v[22:23], -v[22:23], v[30:31], v[28:29]
	s_nop 1
	v_div_fmas_f64 v[22:23], v[22:23], v[26:27], v[30:31]
	v_cmp_gt_f64_e32 vcc, s[6:7], v[2:3]
	v_div_fixup_f64 v[20:21], v[22:23], v[24:25], v[20:21]
	v_cndmask_b32_e64 v22, 0, 1, vcc
	v_lshlrev_b32_e32 v22, 8, v22
	v_ldexp_f64 v[2:3], v[2:3], v22
	v_rsq_f64_e32 v[22:23], v[2:3]
	s_mov_b32 s6, 0x50429b6d
	s_mov_b32 s7, 0x3fe20dd7
	v_mul_f64 v[20:21], v[20:21], s[6:7]
	v_mul_f64 v[24:25], v[2:3], v[22:23]
	v_mul_f64 v[22:23], v[22:23], 0.5
	v_fma_f64 v[26:27], -v[22:23], v[24:25], 0.5
	v_fmac_f64_e32 v[24:25], v[24:25], v[26:27]
	v_fma_f64 v[28:29], -v[24:25], v[24:25], v[2:3]
	v_fmac_f64_e32 v[22:23], v[22:23], v[26:27]
	v_fmac_f64_e32 v[24:25], v[28:29], v[22:23]
	v_fma_f64 v[26:27], -v[24:25], v[24:25], v[2:3]
	v_fmac_f64_e32 v[24:25], v[26:27], v[22:23]
	v_cndmask_b32_e32 v15, 0, v15, vcc
	s_mov_b32 s6, 0x652b82fe
	v_ldexp_f64 v[22:23], v[24:25], v15
	v_cmp_class_f64_e32 vcc, v[2:3], v32
	s_mov_b32 s7, 0x3ff71547
	v_cndmask_b32_e32 v3, v23, v3, vcc
	v_cndmask_b32_e32 v2, v22, v2, vcc
	v_mul_f64 v[22:23], v[10:11], s[6:7]
	s_mov_b32 s6, 0xfefa39ef
	v_rndne_f64_e32 v[22:23], v[22:23]
	s_mov_b32 s7, 0xbfe62e42
	v_fma_f64 v[24:25], s[6:7], v[22:23], v[10:11]
	s_mov_b32 s6, 0x3b39803f
	s_mov_b32 s7, 0xbc7abc9e
	v_fmac_f64_e32 v[24:25], s[6:7], v[22:23]
	s_mov_b32 s6, 0x6a5dcb37
	v_mov_b32_e32 v26, 0xfca7ab0c
	v_mov_b32_e32 v27, 0x3e928af3
	s_mov_b32 s7, 0x3e5ade15
	v_fmac_f64_e32 v[26:27], s[6:7], v[24:25]
	v_mov_b32_e32 v28, 0x623fde64
	v_mov_b32_e32 v29, 0x3ec71dee
	v_fmac_f64_e32 v[28:29], v[24:25], v[26:27]
	v_mov_b32_e32 v26, 0x7c89e6b0
	v_mov_b32_e32 v27, 0x3efa0199
	v_fmac_f64_e32 v[26:27], v[24:25], v[28:29]
	v_mov_b32_e32 v28, 0x14761f6e
	v_mov_b32_e32 v29, 0x3f2a01a0
	v_fmac_f64_e32 v[28:29], v[24:25], v[26:27]
	v_mov_b32_e32 v26, 0x1852b7b0
	v_mov_b32_e32 v27, 0x3f56c16c
	v_fmac_f64_e32 v[26:27], v[24:25], v[28:29]
	v_mov_b32_e32 v28, 0x11122322
	v_mov_b32_e32 v29, 0x3f811111
	v_fmac_f64_e32 v[28:29], v[24:25], v[26:27]
	v_mov_b32_e32 v26, 0x555502a1
	v_mov_b32_e32 v27, 0x3fa55555
	v_fmac_f64_e32 v[26:27], v[24:25], v[28:29]
	v_mov_b32_e32 v28, 0x55555511
	v_mov_b32_e32 v29, 0x3fc55555
	v_fmac_f64_e32 v[28:29], v[24:25], v[26:27]
	v_mov_b32_e32 v26, 11
	v_mov_b32_e32 v27, 0x3fe00000
	s_mov_b32 s6, 0
	v_fmac_f64_e32 v[26:27], v[24:25], v[28:29]
	s_mov_b32 s7, 0x40900000
	v_fma_f64 v[26:27], v[24:25], v[26:27], 1.0
	v_cmp_nlt_f64_e32 vcc, s[6:7], v[10:11]
	s_mov_b32 s6, 0
	v_fma_f64 v[24:25], v[24:25], v[26:27], 1.0
	v_cvt_i32_f64_e32 v15, v[22:23]
	s_mov_b32 s7, 0xc090cc00
	v_ldexp_f64 v[22:23], v[24:25], v15
	v_mov_b32_e32 v15, 0x7ff00000
	v_cmp_ngt_f64_e64 s[6:7], s[6:7], v[10:11]
	v_cndmask_b32_e32 v15, v15, v23, vcc
	s_and_b64 vcc, s[6:7], vcc
	v_add_f64 v[2:3], v[2:3], v[2:3]
	v_cndmask_b32_e64 v11, 0, v15, s[6:7]
	v_cndmask_b32_e32 v10, 0, v22, vcc
	v_mul_f64 v[2:3], v[2:3], v[10:11]
	v_div_scale_f64 v[10:11], s[6:7], v[2:3], v[2:3], v[20:21]
	v_rcp_f64_e32 v[22:23], v[10:11]
	s_mov_b32 s6, 0xfd0a823a
	s_mov_b32 s7, 0x4020a402
	v_fma_f64 v[24:25], -v[10:11], v[22:23], 1.0
	v_fmac_f64_e32 v[22:23], v[22:23], v[24:25]
	v_fma_f64 v[24:25], -v[10:11], v[22:23], 1.0
	v_fmac_f64_e32 v[22:23], v[22:23], v[24:25]
	v_div_scale_f64 v[24:25], vcc, v[20:21], v[2:3], v[20:21]
	v_mul_f64 v[26:27], v[24:25], v[22:23]
	v_fma_f64 v[10:11], -v[10:11], v[26:27], v[24:25]
	s_nop 1
	v_div_fmas_f64 v[10:11], v[10:11], v[22:23], v[26:27]
	v_cmp_nlt_f64_e32 vcc, s[6:7], v[18:19]
	s_andn2_b64 s[6:7], s[16:17], exec
	s_and_b64 s[20:21], vcc, exec
	v_div_fixup_f64 v[10:11], v[10:11], v[2:3], v[20:21]
	s_or_b64 s[6:7], s[6:7], s[20:21]
.LBB0_62:
	s_or_b64 exec, exec, s[18:19]
	s_and_saveexec_b64 s[18:19], s[6:7]
	s_cbranch_execz .LBB0_66
; %bb.63:
	v_mov_b32_e32 v26, 0
	v_mul_f64 v[2:3], v[18:19], v[18:19]
	v_mov_b32_e32 v27, 0x3ff00000
	s_mov_b32 s22, 0
	v_mul_f64 v[20:21], v[18:19], v[2:3]
	s_mov_b64 s[20:21], 0
	s_mov_b32 s23, 0x3cb00000
	v_pk_mov_b32 v[24:25], v[26:27], v[26:27] op_sel:[0,1]
	v_pk_mov_b32 v[22:23], v[18:19], v[18:19] op_sel:[0,1]
	;; [unrolled: 1-line block ×3, first 2 shown]
.LBB0_64:                               ; =>This Inner Loop Header: Depth=1
	v_mul_f64 v[26:27], v[20:21], v[26:27]
	v_add_f64 v[28:29], v[24:25], 1.0
	v_mul_f64 v[18:19], v[20:21], v[18:19]
	v_div_scale_f64 v[30:31], s[6:7], v[28:29], v[28:29], v[26:27]
	v_add_f64 v[34:35], v[28:29], 1.0
	v_rcp_f64_e32 v[38:39], v[30:31]
	v_div_scale_f64 v[48:49], s[6:7], v[34:35], v[34:35], v[18:19]
	v_rcp_f64_e32 v[52:53], v[48:49]
	v_fma_f64 v[54:55], -v[30:31], v[38:39], 1.0
	v_fmac_f64_e32 v[38:39], v[38:39], v[54:55]
	v_fma_f64 v[64:65], -v[30:31], v[38:39], 1.0
	v_fma_f64 v[54:55], -v[48:49], v[52:53], 1.0
	v_fmac_f64_e32 v[52:53], v[52:53], v[54:55]
	v_div_scale_f64 v[32:33], vcc, v[26:27], v[28:29], v[26:27]
	v_fmac_f64_e32 v[38:39], v[38:39], v[64:65]
	v_fma_f64 v[54:55], -v[48:49], v[52:53], 1.0
	v_div_scale_f64 v[50:51], s[6:7], v[18:19], v[34:35], v[18:19]
	v_mul_f64 v[64:65], v[32:33], v[38:39]
	v_fmac_f64_e32 v[52:53], v[52:53], v[54:55]
	v_fma_f64 v[30:31], -v[30:31], v[64:65], v[32:33]
	v_mul_f64 v[32:33], v[50:51], v[52:53]
	v_div_fmas_f64 v[30:31], v[30:31], v[38:39], v[64:65]
	v_fma_f64 v[38:39], -v[48:49], v[32:33], v[50:51]
	s_mov_b64 vcc, s[6:7]
	v_div_fixup_f64 v[26:27], v[30:31], v[28:29], v[26:27]
	v_div_fmas_f64 v[28:29], v[38:39], v[52:53], v[32:33]
	v_div_fixup_f64 v[18:19], v[28:29], v[34:35], v[18:19]
	v_div_scale_f64 v[28:29], s[6:7], v[34:35], v[34:35], v[26:27]
	v_add_f64 v[24:25], v[34:35], 1.0
	v_rcp_f64_e32 v[32:33], v[28:29]
	v_div_scale_f64 v[38:39], s[6:7], v[24:25], v[24:25], v[18:19]
	v_rcp_f64_e32 v[50:51], v[38:39]
	v_fma_f64 v[52:53], -v[28:29], v[32:33], 1.0
	v_fmac_f64_e32 v[32:33], v[32:33], v[52:53]
	v_fma_f64 v[54:55], -v[28:29], v[32:33], 1.0
	v_fma_f64 v[52:53], -v[38:39], v[50:51], 1.0
	v_div_scale_f64 v[30:31], vcc, v[26:27], v[34:35], v[26:27]
	v_fmac_f64_e32 v[50:51], v[50:51], v[52:53]
	v_fmac_f64_e32 v[32:33], v[32:33], v[54:55]
	v_fma_f64 v[52:53], -v[38:39], v[50:51], 1.0
	v_mul_f64 v[54:55], v[30:31], v[32:33]
	v_div_scale_f64 v[48:49], s[6:7], v[18:19], v[24:25], v[18:19]
	v_fmac_f64_e32 v[50:51], v[50:51], v[52:53]
	v_fma_f64 v[28:29], -v[28:29], v[54:55], v[30:31]
	v_mul_f64 v[30:31], v[48:49], v[50:51]
	v_div_fmas_f64 v[28:29], v[28:29], v[32:33], v[54:55]
	v_fma_f64 v[32:33], -v[38:39], v[30:31], v[48:49]
	v_div_fixup_f64 v[26:27], v[28:29], v[34:35], v[26:27]
	s_mov_b64 vcc, s[6:7]
	v_div_fmas_f64 v[28:29], v[32:33], v[50:51], v[30:31]
	v_add_f64 v[2:3], v[2:3], v[26:27]
	v_div_fixup_f64 v[18:19], v[28:29], v[24:25], v[18:19]
	v_div_scale_f64 v[28:29], s[6:7], v[2:3], v[2:3], v[26:27]
	v_rcp_f64_e32 v[30:31], v[28:29]
	v_div_scale_f64 v[32:33], vcc, v[26:27], v[2:3], v[26:27]
	v_add_f64 v[22:23], v[22:23], v[18:19]
	v_fma_f64 v[34:35], -v[28:29], v[30:31], 1.0
	v_fmac_f64_e32 v[30:31], v[30:31], v[34:35]
	v_fma_f64 v[34:35], -v[28:29], v[30:31], 1.0
	v_fmac_f64_e32 v[30:31], v[30:31], v[34:35]
	v_mul_f64 v[34:35], v[32:33], v[30:31]
	v_fma_f64 v[28:29], -v[28:29], v[34:35], v[32:33]
	v_div_fmas_f64 v[28:29], v[28:29], v[30:31], v[34:35]
	v_div_fixup_f64 v[28:29], v[28:29], v[2:3], v[26:27]
	v_cmp_ngt_f64_e64 s[6:7], |v[28:29]|, s[22:23]
	s_or_b64 s[20:21], s[6:7], s[20:21]
	s_andn2_b64 exec, exec, s[20:21]
	s_cbranch_execnz .LBB0_64
; %bb.65:
	s_or_b64 exec, exec, s[20:21]
	s_mov_b32 s6, 0x42b70f8b
	s_mov_b32 s7, 0xbfd0907f
	v_mul_f64 v[18:19], v[22:23], s[6:7]
	s_mov_b32 s6, 0x962715b8
	s_mov_b32 s7, 0x3fd6b8c7
	v_fmac_f64_e32 v[18:19], s[6:7], v[2:3]
	v_cndmask_b32_e64 v11, v11, v19, s[16:17]
	v_cndmask_b32_e64 v10, v10, v18, s[16:17]
.LBB0_66:
	s_or_b64 exec, exec, s[18:19]
                                        ; implicit-def: $vgpr18_vgpr19
.LBB0_67:
	s_andn2_saveexec_b64 s[14:15], s[14:15]
	s_cbranch_execz .LBB0_77
; %bb.68:
	s_mov_b32 s6, 0
	s_brev_b32 s7, 9
	v_cmp_lt_f64_e32 vcc, s[6:7], v[18:19]
	v_cndmask_b32_e64 v2, 0, 1, vcc
	v_lshlrev_b32_e32 v2, 8, v2
	v_ldexp_f64 v[2:3], -v[18:19], v2
	v_rsq_f64_e32 v[10:11], v[2:3]
	v_mov_b32_e32 v15, 0x260
	v_mul_f64 v[18:19], v[18:19], -2.0
	s_mov_b32 s16, 0
	v_mul_f64 v[20:21], v[2:3], v[10:11]
	v_mul_f64 v[10:11], v[10:11], 0.5
	v_fma_f64 v[22:23], -v[10:11], v[20:21], 0.5
	v_fmac_f64_e32 v[20:21], v[20:21], v[22:23]
	v_fma_f64 v[24:25], -v[20:21], v[20:21], v[2:3]
	v_fmac_f64_e32 v[10:11], v[10:11], v[22:23]
	v_fmac_f64_e32 v[20:21], v[24:25], v[10:11]
	v_fma_f64 v[22:23], -v[20:21], v[20:21], v[2:3]
	v_fmac_f64_e32 v[20:21], v[22:23], v[10:11]
	v_mov_b32_e32 v10, 0xffffff80
	v_cndmask_b32_e32 v10, 0, v10, vcc
	v_ldexp_f64 v[10:11], v[20:21], v10
	v_cmp_class_f64_e32 vcc, v[2:3], v15
	v_cndmask_b32_e32 v3, v11, v3, vcc
	v_cndmask_b32_e32 v2, v10, v2, vcc
	v_mul_f64 v[10:11], v[18:19], v[2:3]
	s_mov_b32 s17, 0x40080000
	v_div_scale_f64 v[18:19], s[6:7], s[16:17], s[16:17], v[10:11]
	v_rcp_f64_e32 v[20:21], v[18:19]
	s_mov_b32 s19, 0x3fe921fb
	s_mov_b32 s18, 0x54442d18
	s_movk_i32 s6, 0xff80
	v_fma_f64 v[22:23], -v[18:19], v[20:21], 1.0
	v_fmac_f64_e32 v[20:21], v[20:21], v[22:23]
	v_fma_f64 v[22:23], -v[18:19], v[20:21], 1.0
	v_fmac_f64_e32 v[20:21], v[20:21], v[22:23]
	v_div_scale_f64 v[22:23], vcc, v[10:11], s[16:17], v[10:11]
	v_mul_f64 v[24:25], v[22:23], v[20:21]
	v_fma_f64 v[18:19], -v[18:19], v[24:25], v[22:23]
                                        ; implicit-def: $vgpr34
                                        ; implicit-def: $vgpr26_vgpr27
	s_nop 1
	v_div_fmas_f64 v[18:19], v[18:19], v[20:21], v[24:25]
	v_div_fixup_f64 v[22:23], v[18:19], s[16:17], v[10:11]
	s_mov_b32 s16, 0
	v_add_f64 v[10:11], v[22:23], s[18:19]
	s_mov_b32 s17, 0x41d00000
	v_cmp_nlt_f64_e64 s[16:17], |v[10:11]|, s[16:17]
	v_trig_preop_f64 v[32:33], |v[10:11]|, 0
	v_trig_preop_f64 v[30:31], |v[10:11]|, 1
	v_trig_preop_f64 v[28:29], |v[10:11]|, 2
                                        ; implicit-def: $vgpr24_vgpr25
	s_and_saveexec_b64 s[20:21], s[16:17]
	s_xor_b64 s[20:21], exec, s[20:21]
	s_cbranch_execz .LBB0_70
; %bb.69:
	s_mov_b32 s22, 0
	s_mov_b32 s23, 0x7b000000
	v_and_b32_e32 v15, 0x7fffffff, v11
	v_ldexp_f64 v[18:19], |v[10:11]|, s6
	v_cmp_ge_f64_e64 vcc, |v[10:11]|, s[22:23]
	v_cndmask_b32_e32 v19, v15, v19, vcc
	v_cndmask_b32_e32 v18, v10, v18, vcc
	v_mul_f64 v[24:25], v[32:33], v[18:19]
	v_mul_f64 v[20:21], v[30:31], v[18:19]
	v_fma_f64 v[26:27], v[32:33], v[18:19], -v[24:25]
	v_add_f64 v[34:35], v[20:21], v[26:27]
	v_add_f64 v[38:39], v[24:25], v[34:35]
	s_mov_b32 s6, 0
	v_ldexp_f64 v[48:49], v[38:39], -2
	s_mov_b32 s7, 0x7ff00000
	v_fract_f64_e32 v[50:51], v[48:49]
	v_cmp_neq_f64_e64 vcc, |v[48:49]|, s[6:7]
	v_cndmask_b32_e32 v49, 0, v51, vcc
	v_cndmask_b32_e32 v48, 0, v50, vcc
	v_add_f64 v[50:51], v[34:35], -v[20:21]
	v_add_f64 v[26:27], v[26:27], -v[50:51]
	;; [unrolled: 1-line block ×4, first 2 shown]
	v_add_f64 v[26:27], v[26:27], v[50:51]
	v_fma_f64 v[20:21], v[30:31], v[18:19], -v[20:21]
	v_mul_f64 v[50:51], v[28:29], v[18:19]
	v_add_f64 v[54:55], v[50:51], v[20:21]
	v_add_f64 v[64:65], v[54:55], v[26:27]
	v_add_f64 v[24:25], v[38:39], -v[24:25]
	v_add_f64 v[38:39], v[64:65], -v[54:55]
	;; [unrolled: 1-line block ×5, first 2 shown]
	v_add_f64 v[26:27], v[26:27], v[38:39]
	v_add_f64 v[38:39], v[54:55], -v[50:51]
	v_add_f64 v[20:21], v[20:21], -v[38:39]
	;; [unrolled: 1-line block ×5, first 2 shown]
	v_add_f64 v[34:35], v[24:25], v[64:65]
	v_add_f64 v[20:21], v[20:21], v[38:39]
	v_add_f64 v[24:25], v[34:35], -v[24:25]
	v_add_f64 v[20:21], v[20:21], v[26:27]
	v_fma_f64 v[18:19], v[28:29], v[18:19], -v[50:51]
	v_add_f64 v[24:25], v[64:65], -v[24:25]
	v_add_f64 v[18:19], v[18:19], v[20:21]
	v_ldexp_f64 v[20:21], v[48:49], 2
	v_add_f64 v[18:19], v[24:25], v[18:19]
	v_add_f64 v[24:25], v[34:35], v[20:21]
	v_mov_b32_e32 v15, 0x40100000
	v_cmp_gt_f64_e32 vcc, 0, v[24:25]
	v_mov_b32_e32 v52, 0
	v_cndmask_b32_e32 v53, 0, v15, vcc
	v_add_f64 v[20:21], v[20:21], v[52:53]
	v_add_f64 v[24:25], v[34:35], v[20:21]
	v_cvt_i32_f64_e32 v15, v[24:25]
	v_cvt_f64_i32_e32 v[24:25], v15
	v_add_f64 v[20:21], v[20:21], -v[24:25]
	v_add_f64 v[24:25], v[34:35], v[20:21]
	v_add_f64 v[20:21], v[24:25], -v[20:21]
	v_cmp_le_f64_e32 vcc, 0.5, v[24:25]
	v_add_f64 v[20:21], v[34:35], -v[20:21]
	v_addc_co_u32_e64 v34, s[6:7], 0, v15, vcc
	v_mov_b32_e32 v15, 0x3ff00000
	v_cndmask_b32_e32 v53, 0, v15, vcc
	v_add_f64 v[18:19], v[18:19], v[20:21]
	v_add_f64 v[20:21], v[24:25], -v[52:53]
	v_add_f64 v[24:25], v[20:21], v[18:19]
	v_add_f64 v[20:21], v[24:25], -v[20:21]
	s_mov_b32 s19, 0x3ff921fb
	v_add_f64 v[18:19], v[18:19], -v[20:21]
	v_mul_f64 v[20:21], v[24:25], s[18:19]
	s_mov_b32 s6, 0x33145c07
	v_fma_f64 v[26:27], v[24:25], s[18:19], -v[20:21]
	s_mov_b32 s7, 0x3c91a626
	v_fmac_f64_e32 v[26:27], s[6:7], v[24:25]
	v_fmac_f64_e32 v[26:27], s[18:19], v[18:19]
	v_add_f64 v[24:25], v[20:21], v[26:27]
	v_add_f64 v[18:19], v[24:25], -v[20:21]
	v_add_f64 v[26:27], v[26:27], -v[18:19]
	s_andn2_saveexec_b64 s[6:7], s[20:21]
	s_cbranch_execz .LBB0_72
	s_branch .LBB0_71
.LBB0_70:
	s_andn2_saveexec_b64 s[6:7], s[20:21]
	s_cbranch_execz .LBB0_72
.LBB0_71:
	s_mov_b32 s18, 0x6dc9c883
	s_mov_b32 s19, 0x3fe45f30
	v_mul_f64 v[18:19], |v[10:11]|, s[18:19]
	s_mov_b32 s18, 0x54442d18
	v_rndne_f64_e32 v[18:19], v[18:19]
	s_mov_b32 s19, 0xbff921fb
	v_fma_f64 v[20:21], v[18:19], s[18:19], |v[10:11]|
	s_mov_b32 s19, 0xbc91a626
	s_mov_b32 s18, 0x33145c00
	v_mul_f64 v[24:25], v[18:19], s[18:19]
	v_add_f64 v[38:39], v[20:21], v[24:25]
	v_fma_f64 v[26:27], s[18:19], v[18:19], v[20:21]
	s_mov_b32 s19, 0x3c91a626
	v_add_f64 v[20:21], v[20:21], -v[38:39]
	v_fma_f64 v[34:35], s[18:19], v[18:19], v[24:25]
	v_add_f64 v[20:21], v[20:21], v[24:25]
	v_add_f64 v[24:25], v[38:39], -v[26:27]
	v_add_f64 v[20:21], v[24:25], v[20:21]
	s_mov_b32 s18, 0x252049c0
	v_add_f64 v[20:21], v[20:21], -v[34:35]
	s_mov_b32 s19, 0xb97b839a
	v_fmac_f64_e32 v[20:21], s[18:19], v[18:19]
	v_add_f64 v[24:25], v[26:27], v[20:21]
	v_add_f64 v[26:27], v[24:25], -v[26:27]
	v_add_f64 v[26:27], v[20:21], -v[26:27]
	v_cvt_i32_f64_e32 v34, v[18:19]
.LBB0_72:
	s_or_b64 exec, exec, s[6:7]
                                        ; implicit-def: $vgpr15
                                        ; implicit-def: $vgpr18_vgpr19
                                        ; implicit-def: $vgpr20_vgpr21
	s_and_saveexec_b64 s[6:7], s[16:17]
	s_xor_b64 s[16:17], exec, s[6:7]
	s_cbranch_execz .LBB0_74
; %bb.73:
	s_mov_b32 s6, 0
	s_mov_b32 s7, 0x7b000000
	s_movk_i32 s18, 0xff80
	v_and_b32_e32 v15, 0x7fffffff, v11
	v_ldexp_f64 v[18:19], |v[10:11]|, s18
	v_cmp_ge_f64_e64 vcc, |v[10:11]|, s[6:7]
	v_cndmask_b32_e32 v19, v15, v19, vcc
	v_cndmask_b32_e32 v18, v10, v18, vcc
	v_mul_f64 v[38:39], v[32:33], v[18:19]
	v_mul_f64 v[20:21], v[30:31], v[18:19]
	v_fma_f64 v[32:33], v[32:33], v[18:19], -v[38:39]
	v_add_f64 v[48:49], v[20:21], v[32:33]
	v_add_f64 v[50:51], v[38:39], v[48:49]
	s_mov_b32 s6, 0
	v_ldexp_f64 v[52:53], v[50:51], -2
	s_mov_b32 s7, 0x7ff00000
	v_fract_f64_e32 v[54:55], v[52:53]
	v_cmp_neq_f64_e64 vcc, |v[52:53]|, s[6:7]
	v_cndmask_b32_e32 v53, 0, v55, vcc
	v_cndmask_b32_e32 v52, 0, v54, vcc
	v_add_f64 v[54:55], v[48:49], -v[20:21]
	v_add_f64 v[32:33], v[32:33], -v[54:55]
	v_add_f64 v[54:55], v[48:49], -v[54:55]
	v_add_f64 v[54:55], v[20:21], -v[54:55]
	v_fma_f64 v[20:21], v[30:31], v[18:19], -v[20:21]
	v_mul_f64 v[30:31], v[28:29], v[18:19]
	v_add_f64 v[32:33], v[32:33], v[54:55]
	v_add_f64 v[54:55], v[30:31], v[20:21]
	v_add_f64 v[66:67], v[54:55], v[32:33]
	v_add_f64 v[38:39], v[50:51], -v[38:39]
	v_add_f64 v[50:51], v[66:67], -v[54:55]
	v_add_f64 v[32:33], v[32:33], -v[50:51]
	v_add_f64 v[50:51], v[66:67], -v[50:51]
	v_add_f64 v[50:51], v[54:55], -v[50:51]
	v_add_f64 v[32:33], v[32:33], v[50:51]
	v_add_f64 v[50:51], v[54:55], -v[30:31]
	v_add_f64 v[20:21], v[20:21], -v[50:51]
	;; [unrolled: 1-line block ×4, first 2 shown]
	v_add_f64 v[20:21], v[20:21], v[50:51]
	v_add_f64 v[38:39], v[48:49], -v[38:39]
	v_add_f64 v[20:21], v[20:21], v[32:33]
	v_fma_f64 v[18:19], v[28:29], v[18:19], -v[30:31]
	v_add_f64 v[48:49], v[38:39], v[66:67]
	v_add_f64 v[18:19], v[18:19], v[20:21]
	v_ldexp_f64 v[20:21], v[52:53], 2
	v_add_f64 v[28:29], v[48:49], v[20:21]
	v_mov_b32_e32 v15, 0x40100000
	v_cmp_gt_f64_e32 vcc, 0, v[28:29]
	v_mov_b32_e32 v64, 0
	v_cndmask_b32_e32 v65, 0, v15, vcc
	v_add_f64 v[20:21], v[20:21], v[64:65]
	v_add_f64 v[28:29], v[48:49], v[20:21]
	v_cvt_i32_f64_e32 v15, v[28:29]
	v_cvt_f64_i32_e32 v[28:29], v15
	v_add_f64 v[20:21], v[20:21], -v[28:29]
	v_add_f64 v[38:39], v[48:49], -v[38:39]
	v_add_f64 v[28:29], v[48:49], v[20:21]
	v_add_f64 v[38:39], v[66:67], -v[38:39]
	v_add_f64 v[20:21], v[28:29], -v[20:21]
	v_add_f64 v[18:19], v[38:39], v[18:19]
	v_add_f64 v[20:21], v[48:49], -v[20:21]
	v_add_f64 v[18:19], v[18:19], v[20:21]
	v_cmp_le_f64_e32 vcc, 0.5, v[28:29]
	v_mov_b32_e32 v20, 0x3ff00000
	v_cndmask_b32_e32 v65, 0, v20, vcc
	v_addc_co_u32_e64 v15, s[6:7], 0, v15, vcc
	v_add_f64 v[20:21], v[28:29], -v[64:65]
	v_add_f64 v[28:29], v[20:21], v[18:19]
	s_mov_b32 s6, 0x54442d18
	v_add_f64 v[20:21], v[28:29], -v[20:21]
	s_mov_b32 s7, 0x3ff921fb
	v_add_f64 v[18:19], v[18:19], -v[20:21]
	v_mul_f64 v[20:21], v[28:29], s[6:7]
	s_mov_b32 s18, 0x33145c07
	v_fma_f64 v[30:31], v[28:29], s[6:7], -v[20:21]
	s_mov_b32 s19, 0x3c91a626
	v_fmac_f64_e32 v[30:31], s[18:19], v[28:29]
	v_fmac_f64_e32 v[30:31], s[6:7], v[18:19]
	v_add_f64 v[18:19], v[20:21], v[30:31]
	v_add_f64 v[20:21], v[18:19], -v[20:21]
	v_add_f64 v[20:21], v[30:31], -v[20:21]
	s_andn2_saveexec_b64 s[6:7], s[16:17]
	s_cbranch_execnz .LBB0_75
	s_branch .LBB0_76
.LBB0_74:
	s_andn2_saveexec_b64 s[6:7], s[16:17]
	s_cbranch_execz .LBB0_76
.LBB0_75:
	s_mov_b32 s16, 0x6dc9c883
	s_mov_b32 s17, 0x3fe45f30
	v_mul_f64 v[18:19], |v[10:11]|, s[16:17]
	s_mov_b32 s16, 0x54442d18
	v_rndne_f64_e32 v[28:29], v[18:19]
	s_mov_b32 s17, 0xbff921fb
	v_fma_f64 v[18:19], v[28:29], s[16:17], |v[10:11]|
	s_mov_b32 s17, 0xbc91a626
	s_mov_b32 s16, 0x33145c00
	v_mul_f64 v[30:31], v[28:29], s[16:17]
	v_add_f64 v[38:39], v[18:19], v[30:31]
	v_fma_f64 v[20:21], s[16:17], v[28:29], v[18:19]
	s_mov_b32 s17, 0x3c91a626
	v_add_f64 v[18:19], v[18:19], -v[38:39]
	v_fma_f64 v[32:33], s[16:17], v[28:29], v[30:31]
	v_add_f64 v[18:19], v[18:19], v[30:31]
	v_add_f64 v[30:31], v[38:39], -v[20:21]
	v_add_f64 v[18:19], v[30:31], v[18:19]
	s_mov_b32 s16, 0x252049c0
	v_add_f64 v[30:31], v[18:19], -v[32:33]
	s_mov_b32 s17, 0xb97b839a
	v_fmac_f64_e32 v[30:31], s[16:17], v[28:29]
	v_add_f64 v[18:19], v[20:21], v[30:31]
	v_add_f64 v[20:21], v[18:19], -v[20:21]
	v_add_f64 v[20:21], v[30:31], -v[20:21]
	v_cvt_i32_f64_e32 v15, v[28:29]
.LBB0_76:
	s_or_b64 exec, exec, s[6:7]
	v_div_scale_f64 v[28:29], s[6:7], v[22:23], v[22:23], 1.0
	v_rcp_f64_e32 v[30:31], v[28:29]
	v_div_scale_f64 v[32:33], vcc, 1.0, v[22:23], 1.0
	v_mov_b32_e32 v48, 0xb99518a7
	v_fma_f64 v[38:39], -v[28:29], v[30:31], 1.0
	v_fmac_f64_e32 v[30:31], v[30:31], v[38:39]
	v_fma_f64 v[38:39], -v[28:29], v[30:31], 1.0
	v_fmac_f64_e32 v[30:31], v[30:31], v[38:39]
	v_mul_f64 v[38:39], v[32:33], v[30:31]
	v_fma_f64 v[28:29], -v[28:29], v[38:39], v[32:33]
	v_div_fmas_f64 v[28:29], v[28:29], v[30:31], v[38:39]
	v_div_fixup_f64 v[22:23], v[28:29], v[22:23], 1.0
	v_mul_f64 v[28:29], v[22:23], v[22:23]
	v_mov_b32_e32 v30, 0xd50ae6fb
	v_mov_b32_e32 v31, 0xbfc0db6c
	v_fmac_f64_e32 v[30:31], 0, v[28:29]
	v_mov_b32_e32 v32, 0x98566852
	v_mov_b32_e32 v33, 0xbfe40bee
	v_fmac_f64_e32 v[32:33], v[28:29], v[30:31]
	;; [unrolled: 3-line block ×16, first 2 shown]
	v_mov_b32_e32 v49, 0x3e9e52b9
	v_mul_f64 v[50:51], v[24:25], v[24:25]
	v_fmac_f64_e32 v[48:49], v[28:29], v[38:39]
	v_mov_b32_e32 v38, 0xf68ea2d2
	v_mov_b32_e32 v39, 0xbe52041c
	v_mul_f64 v[30:31], v[50:51], 0.5
	v_fmac_f64_e32 v[38:39], v[28:29], v[32:33]
	v_add_f64 v[32:33], -v[30:31], 1.0
	s_mov_b32 s6, 0x9037ab78
	v_add_f64 v[52:53], -v[32:33], 1.0
	s_mov_b32 s7, 0x3e21eeb6
	s_mov_b32 s16, 0x46cc5e42
	v_add_f64 v[52:53], v[52:53], -v[30:31]
	s_mov_b32 s17, 0xbda907db
	v_pk_mov_b32 v[30:31], s[6:7], s[6:7] op_sel:[0,1]
	s_mov_b32 s18, 0xa17f65f6
	v_fma_f64 v[64:65], s[16:17], v[50:51], v[30:31]
	s_mov_b32 s19, 0xbe927e4f
	s_mov_b32 s20, 0x19f4ec90
	v_fma_f64 v[64:65], v[50:51], v[64:65], s[18:19]
	s_mov_b32 s21, 0x3efa01a0
	;; [unrolled: 3-line block ×4, first 2 shown]
	v_mul_f64 v[54:55], v[50:51], v[50:51]
	v_fma_f64 v[64:65], v[50:51], v[64:65], s[24:25]
	v_fma_f64 v[52:53], v[24:25], -v[26:27], v[52:53]
	s_mov_b32 s6, 0xb42fdfa7
	v_fmac_f64_e32 v[52:53], v[54:55], v[64:65]
	s_mov_b32 s7, 0xbe5ae600
	s_mov_b32 s26, 0xf9a43bb8
	v_add_f64 v[52:53], v[32:33], v[52:53]
	s_mov_b32 s27, 0x3de5e0b2
	v_pk_mov_b32 v[32:33], s[6:7], s[6:7] op_sel:[0,1]
	s_mov_b32 s28, 0x796cde01
	v_fma_f64 v[54:55], s[26:27], v[50:51], v[32:33]
	s_mov_b32 s29, 0x3ec71de3
	s_mov_b32 s30, 0x19e83e5c
	v_fma_f64 v[54:55], v[50:51], v[54:55], s[28:29]
	s_mov_b32 s31, 0xbf2a01a0
	;; [unrolled: 3-line block ×3, first 2 shown]
	v_fma_f64 v[54:55], v[50:51], v[54:55], s[34:35]
	v_mul_f64 v[64:65], v[24:25], -v[50:51]
	v_mul_f64 v[66:67], v[26:27], 0.5
	v_fmac_f64_e32 v[66:67], v[64:65], v[54:55]
	v_fma_f64 v[26:27], v[50:51], v[66:67], -v[26:27]
	s_mov_b32 s37, 0xbfc55555
	s_mov_b32 s36, s24
	v_fmac_f64_e32 v[26:27], s[36:37], v[64:65]
	v_add_f64 v[24:25], v[24:25], -v[26:27]
	v_and_b32_e32 v26, 1, v34
	v_cmp_eq_u32_e32 vcc, 0, v26
	v_cndmask_b32_e32 v37, v52, v24, vcc
	v_cndmask_b32_e32 v24, v53, v25, vcc
	v_lshlrev_b32_e32 v25, 30, v34
	v_xor_b32_e32 v25, v25, v11
	v_and_b32_e32 v25, 0x80000000, v25
	v_xor_b32_e32 v50, v24, v25
	v_mul_f64 v[24:25], v[28:29], v[38:39]
	v_div_scale_f64 v[26:27], s[6:7], v[48:49], v[48:49], v[24:25]
	v_rcp_f64_e32 v[34:35], v[26:27]
	s_movk_i32 vcc_lo, 0x1f8
	v_cmp_class_f64_e64 s[6:7], v[10:11], vcc_lo
	v_cndmask_b32_e64 v10, 0, v37, s[6:7]
	v_fma_f64 v[38:39], -v[26:27], v[34:35], 1.0
	v_fmac_f64_e32 v[34:35], v[34:35], v[38:39]
	v_fma_f64 v[38:39], -v[26:27], v[34:35], 1.0
	v_mov_b32_e32 v37, 0x7ff80000
	v_fmac_f64_e32 v[34:35], v[34:35], v[38:39]
	v_div_scale_f64 v[38:39], vcc, v[24:25], v[48:49], v[24:25]
	v_cndmask_b32_e64 v11, v37, v50, s[6:7]
	v_mul_f64 v[50:51], v[38:39], v[34:35]
	v_fma_f64 v[26:27], -v[26:27], v[50:51], v[38:39]
	s_nop 0
	v_div_fmas_f64 v[26:27], v[26:27], v[34:35], v[50:51]
	v_div_fixup_f64 v[24:25], v[26:27], v[48:49], v[24:25]
	v_mov_b32_e32 v26, 0xddcfbbde
	v_mov_b32_e32 v27, 0x3f943525
	v_fmac_f64_e32 v[26:27], 0, v[28:29]
	v_mov_b32_e32 v34, 0x6437b7
	v_mov_b32_e32 v35, 0x3fd907d5
	v_fmac_f64_e32 v[34:35], v[28:29], v[26:27]
	;; [unrolled: 3-line block ×16, first 2 shown]
	v_mov_b32_e32 v38, 0xed64a9ee
	v_mov_b32_e32 v39, 0x3fb6221d
	s_mov_b32 vcc_lo, 0
	v_fmac_f64_e32 v[38:39], v[28:29], v[34:35]
	v_mov_b32_e32 v34, 0x6be393bb
	v_mov_b32_e32 v35, 0x3f70e704
	s_brev_b32 vcc_hi, 8
	v_fmac_f64_e32 v[34:35], v[28:29], v[38:39]
	v_mov_b32_e32 v38, 0xd603a5a0
	v_mov_b32_e32 v39, 0x3f1a8b61
	v_cmp_gt_f64_e32 vcc, vcc, v[2:3]
	v_fmac_f64_e32 v[38:39], v[28:29], v[34:35]
	v_cndmask_b32_e64 v34, 0, 1, vcc
	v_lshlrev_b32_e32 v34, 8, v34
	v_ldexp_f64 v[2:3], v[2:3], v34
	v_rsq_f64_e32 v[34:35], v[2:3]
	v_mov_b32_e32 v48, 0xdb0724e8
	v_mov_b32_e32 v49, 0x3eb3a845
	v_fmac_f64_e32 v[48:49], v[28:29], v[38:39]
	v_mul_f64 v[38:39], v[2:3], v[34:35]
	v_mul_f64 v[34:35], v[34:35], 0.5
	v_fma_f64 v[50:51], -v[34:35], v[38:39], 0.5
	v_fmac_f64_e32 v[38:39], v[38:39], v[50:51]
	v_fma_f64 v[52:53], -v[38:39], v[38:39], v[2:3]
	v_fmac_f64_e32 v[34:35], v[34:35], v[50:51]
	v_fmac_f64_e32 v[38:39], v[52:53], v[34:35]
	v_fma_f64 v[50:51], -v[38:39], v[38:39], v[2:3]
	v_fmac_f64_e32 v[38:39], v[50:51], v[34:35]
	v_mov_b32_e32 v34, 0xffffff80
	v_cndmask_b32_e32 v34, 0, v34, vcc
	v_ldexp_f64 v[34:35], v[38:39], v34
	v_mov_b32_e32 v38, 0x260
	v_cmp_class_f64_e32 vcc, v[2:3], v38
	s_mov_b32 s40, 0x50429b6d
	v_cndmask_b32_e32 v3, v35, v3, vcc
	v_cndmask_b32_e32 v2, v34, v2, vcc
	s_mov_b32 s41, 0x3fe20dd7
	v_div_scale_f64 v[34:35], vcc, v[2:3], v[2:3], s[40:41]
	v_rcp_f64_e32 v[38:39], v[34:35]
	v_mov_b32_e32 v50, 0x3dd589d4
	v_mov_b32_e32 v51, 0x3e351fc7
	v_fmac_f64_e32 v[50:51], v[28:29], v[48:49]
	v_fma_f64 v[28:29], -v[34:35], v[38:39], 1.0
	v_fmac_f64_e32 v[38:39], v[38:39], v[28:29]
	v_fma_f64 v[28:29], -v[34:35], v[38:39], 1.0
	v_fmac_f64_e32 v[38:39], v[38:39], v[28:29]
	v_div_scale_f64 v[28:29], vcc, s[40:41], v[2:3], s[40:41]
	v_mul_f64 v[48:49], v[28:29], v[38:39]
	v_fma_f64 v[28:29], -v[34:35], v[48:49], v[28:29]
	v_add_f64 v[24:25], v[24:25], 1.0
	s_nop 0
	v_div_fmas_f64 v[28:29], v[28:29], v[38:39], v[48:49]
	v_div_fixup_f64 v[2:3], v[28:29], v[2:3], s[40:41]
	v_mul_f64 v[28:29], v[18:19], v[18:19]
	v_mul_f64 v[34:35], v[28:29], 0.5
	v_fmac_f64_e32 v[30:31], s[16:17], v[28:29]
	v_add_f64 v[38:39], -v[34:35], 1.0
	v_fma_f64 v[30:31], v[28:29], v[30:31], s[18:19]
	v_add_f64 v[48:49], -v[38:39], 1.0
	v_fma_f64 v[30:31], v[28:29], v[30:31], s[20:21]
	v_add_f64 v[34:35], v[48:49], -v[34:35]
	v_fma_f64 v[30:31], v[28:29], v[30:31], s[22:23]
	v_fmac_f64_e32 v[32:33], s[26:27], v[28:29]
	v_mul_f64 v[48:49], v[28:29], v[28:29]
	v_fma_f64 v[30:31], v[28:29], v[30:31], s[24:25]
	v_fma_f64 v[34:35], v[18:19], -v[20:21], v[34:35]
	v_fma_f64 v[32:33], v[28:29], v[32:33], s[28:29]
	v_fmac_f64_e32 v[34:35], v[48:49], v[30:31]
	v_fma_f64 v[32:33], v[28:29], v[32:33], s[30:31]
	v_add_f64 v[30:31], v[38:39], v[34:35]
	v_fma_f64 v[32:33], v[28:29], v[32:33], s[34:35]
	v_mul_f64 v[34:35], v[18:19], -v[28:29]
	v_mul_f64 v[38:39], v[20:21], 0.5
	v_fmac_f64_e32 v[38:39], v[34:35], v[32:33]
	v_fma_f64 v[20:21], v[28:29], v[38:39], -v[20:21]
	v_fmac_f64_e32 v[20:21], s[36:37], v[34:35]
	v_add_f64 v[18:19], v[18:19], -v[20:21]
	v_and_b32_e32 v20, 1, v15
	v_xor_b32_e32 v19, 0x80000000, v19
	v_cmp_eq_u32_e32 vcc, 0, v20
	v_cndmask_b32_e32 v28, v18, v30, vcc
	v_cndmask_b32_e32 v29, v19, v31, vcc
	v_mul_f64 v[18:19], v[22:23], v[26:27]
	v_div_scale_f64 v[20:21], s[16:17], v[50:51], v[50:51], v[18:19]
	v_rcp_f64_e32 v[22:23], v[20:21]
	v_lshlrev_b32_e32 v15, 30, v15
	v_and_b32_e32 v15, 0x80000000, v15
	v_xor_b32_e32 v15, v29, v15
	v_cndmask_b32_e64 v26, 0, v28, s[6:7]
	v_fma_f64 v[28:29], -v[20:21], v[22:23], 1.0
	v_fmac_f64_e32 v[22:23], v[22:23], v[28:29]
	v_fma_f64 v[28:29], -v[20:21], v[22:23], 1.0
	v_fmac_f64_e32 v[22:23], v[22:23], v[28:29]
	v_div_scale_f64 v[28:29], vcc, v[18:19], v[50:51], v[18:19]
	v_mul_f64 v[30:31], v[28:29], v[22:23]
	v_fma_f64 v[20:21], -v[20:21], v[30:31], v[28:29]
	v_cndmask_b32_e64 v27, v37, v15, s[6:7]
	s_nop 0
	v_div_fmas_f64 v[20:21], v[20:21], v[22:23], v[30:31]
	v_div_fixup_f64 v[18:19], v[20:21], v[50:51], v[18:19]
	v_mul_f64 v[18:19], v[18:19], v[26:27]
	v_fma_f64 v[10:11], v[24:25], v[10:11], -v[18:19]
	v_mul_f64 v[10:11], v[2:3], v[10:11]
.LBB0_77:
	s_or_b64 exec, exec, s[14:15]
.LBB0_78:
	s_or_b64 exec, exec, s[12:13]
.LBB0_79:
	s_or_b64 exec, exec, s[10:11]
.LBB0_80:
	s_or_b64 exec, exec, s[8:9]
	v_add_u32_e32 v2, 0x300, v5
	v_cmp_lt_i32_e32 vcc, v2, v4
	s_and_saveexec_b64 s[8:9], vcc
	s_cbranch_execz .LBB0_94
; %bb.81:
	s_mov_b32 s6, 0
	s_mov_b32 s7, 0x7ff00000
	v_mov_b32_e32 v12, 0
	s_waitcnt vmcnt(0) lgkmcnt(0)
	v_cmp_neq_f64_e64 s[6:7], |v[16:17]|, s[6:7]
	v_mov_b32_e32 v13, 0x7ff80000
	s_and_saveexec_b64 s[10:11], s[6:7]
	s_cbranch_execz .LBB0_107
; %bb.82:
	s_mov_b32 s6, 0x872b020c
	s_mov_b32 s7, 0x4059f916
	v_cmp_nlt_f64_e32 vcc, s[6:7], v[16:17]
	v_pk_mov_b32 v[12:13], 0, 0
	s_and_saveexec_b64 s[12:13], vcc
	s_cbranch_execz .LBB0_106
; %bb.83:
	s_mov_b32 s7, 0xc000b851
	s_mov_b32 s6, 0xeb851eb8
	v_cmp_ngt_f64_e32 vcc, s[6:7], v[16:17]
	s_and_saveexec_b64 s[14:15], vcc
	s_xor_b64 s[14:15], exec, s[14:15]
	s_cbranch_execz .LBB0_91
; %bb.84:
	s_mov_b32 s7, 0x4000b851
	v_cmp_nle_f64_e64 s[16:17], s[6:7], v[16:17]
	v_cmp_le_f64_e32 vcc, s[6:7], v[16:17]
	v_pk_mov_b32 v[12:13], 0, 0
	s_mov_b64 s[6:7], s[16:17]
	s_and_saveexec_b64 s[18:19], vcc
	s_cbranch_execz .LBB0_86
; %bb.85:
	s_mov_b32 s6, 0
	s_brev_b32 s7, 8
	v_cmp_gt_f64_e32 vcc, s[6:7], v[16:17]
	v_cndmask_b32_e64 v2, 0, 1, vcc
	v_lshlrev_b32_e32 v2, 8, v2
	v_ldexp_f64 v[2:3], v[16:17], v2
	v_rsq_f64_e32 v[12:13], v[2:3]
	v_mov_b32_e32 v15, 0xffffff80
	v_mov_b32_e32 v30, 0x260
	v_add_f64 v[18:19], v[16:17], v[16:17]
	v_mul_f64 v[20:21], v[2:3], v[12:13]
	v_mul_f64 v[12:13], v[12:13], 0.5
	v_fma_f64 v[22:23], -v[12:13], v[20:21], 0.5
	v_fmac_f64_e32 v[20:21], v[20:21], v[22:23]
	v_fma_f64 v[24:25], -v[20:21], v[20:21], v[2:3]
	v_fmac_f64_e32 v[12:13], v[12:13], v[22:23]
	v_fmac_f64_e32 v[20:21], v[24:25], v[12:13]
	v_fma_f64 v[22:23], -v[20:21], v[20:21], v[2:3]
	v_fmac_f64_e32 v[20:21], v[22:23], v[12:13]
	v_cndmask_b32_e32 v12, 0, v15, vcc
	v_ldexp_f64 v[12:13], v[20:21], v12
	v_cmp_class_f64_e32 vcc, v[2:3], v30
	v_cndmask_b32_e32 v3, v13, v3, vcc
	v_cndmask_b32_e32 v2, v12, v2, vcc
	s_mov_b32 s20, 0
	v_mul_f64 v[12:13], v[18:19], v[2:3]
	s_mov_b32 s21, 0x40080000
	v_div_scale_f64 v[18:19], s[22:23], s[20:21], s[20:21], v[12:13]
	v_rcp_f64_e32 v[20:21], v[18:19]
	v_fma_f64 v[22:23], -v[18:19], v[20:21], 1.0
	v_fmac_f64_e32 v[20:21], v[20:21], v[22:23]
	v_fma_f64 v[22:23], -v[18:19], v[20:21], 1.0
	v_fmac_f64_e32 v[20:21], v[20:21], v[22:23]
	v_div_scale_f64 v[22:23], vcc, v[12:13], s[20:21], v[12:13]
	v_mul_f64 v[24:25], v[22:23], v[20:21]
	v_fma_f64 v[18:19], -v[18:19], v[24:25], v[22:23]
	s_nop 1
	v_div_fmas_f64 v[18:19], v[18:19], v[20:21], v[24:25]
	v_div_fixup_f64 v[12:13], v[18:19], s[20:21], v[12:13]
	v_div_scale_f64 v[18:19], s[20:21], v[12:13], v[12:13], 1.0
	v_rcp_f64_e32 v[20:21], v[18:19]
	v_fma_f64 v[22:23], -v[18:19], v[20:21], 1.0
	v_fmac_f64_e32 v[20:21], v[20:21], v[22:23]
	v_fma_f64 v[22:23], -v[18:19], v[20:21], 1.0
	v_fmac_f64_e32 v[20:21], v[20:21], v[22:23]
	v_div_scale_f64 v[22:23], vcc, 1.0, v[12:13], 1.0
	v_mul_f64 v[24:25], v[22:23], v[20:21]
	v_fma_f64 v[18:19], -v[18:19], v[24:25], v[22:23]
	v_mov_b32_e32 v22, 0x871a9067
	s_nop 0
	v_div_fmas_f64 v[18:19], v[18:19], v[20:21], v[24:25]
	v_div_fixup_f64 v[18:19], v[18:19], v[12:13], 1.0
	v_mov_b32_e32 v20, 0x2537b658
	v_mov_b32_e32 v21, 0x3fd62dae
	v_fmac_f64_e32 v[20:21], 0, v[18:19]
	v_mov_b32_e32 v23, 0x402803e3
	v_fmac_f64_e32 v[22:23], v[18:19], v[20:21]
	v_mov_b32_e32 v20, 0xde2e1e3
	v_mov_b32_e32 v21, 0x405311e5
	v_fmac_f64_e32 v[20:21], v[18:19], v[22:23]
	v_mov_b32_e32 v22, 0xee40073c
	;; [unrolled: 3-line block ×12, first 2 shown]
	v_mov_b32_e32 v23, 0x402c311b
	v_fmac_f64_e32 v[22:23], v[18:19], v[24:25]
	v_fma_f64 v[22:23], v[18:19], v[22:23], 1.0
	v_fma_f64 v[18:19], v[18:19], v[20:21], 1.0
	v_div_scale_f64 v[20:21], s[20:21], v[22:23], v[22:23], v[18:19]
	v_rcp_f64_e32 v[24:25], v[20:21]
	v_fma_f64 v[26:27], -v[20:21], v[24:25], 1.0
	v_fmac_f64_e32 v[24:25], v[24:25], v[26:27]
	v_fma_f64 v[26:27], -v[20:21], v[24:25], 1.0
	v_fmac_f64_e32 v[24:25], v[24:25], v[26:27]
	v_div_scale_f64 v[26:27], vcc, v[18:19], v[22:23], v[18:19]
	v_mul_f64 v[28:29], v[26:27], v[24:25]
	v_fma_f64 v[20:21], -v[20:21], v[28:29], v[26:27]
	s_nop 1
	v_div_fmas_f64 v[20:21], v[20:21], v[24:25], v[28:29]
	v_cmp_gt_f64_e32 vcc, s[6:7], v[2:3]
	v_div_fixup_f64 v[18:19], v[20:21], v[22:23], v[18:19]
	v_cndmask_b32_e64 v20, 0, 1, vcc
	v_lshlrev_b32_e32 v20, 8, v20
	v_ldexp_f64 v[2:3], v[2:3], v20
	v_rsq_f64_e32 v[20:21], v[2:3]
	s_mov_b32 s6, 0x50429b6d
	s_mov_b32 s7, 0x3fe20dd7
	v_mul_f64 v[18:19], v[18:19], s[6:7]
	v_mul_f64 v[22:23], v[2:3], v[20:21]
	v_mul_f64 v[20:21], v[20:21], 0.5
	v_fma_f64 v[24:25], -v[20:21], v[22:23], 0.5
	v_fmac_f64_e32 v[22:23], v[22:23], v[24:25]
	v_fma_f64 v[26:27], -v[22:23], v[22:23], v[2:3]
	v_fmac_f64_e32 v[20:21], v[20:21], v[24:25]
	v_fmac_f64_e32 v[22:23], v[26:27], v[20:21]
	v_fma_f64 v[24:25], -v[22:23], v[22:23], v[2:3]
	v_fmac_f64_e32 v[22:23], v[24:25], v[20:21]
	v_cndmask_b32_e32 v15, 0, v15, vcc
	s_mov_b32 s6, 0x652b82fe
	v_ldexp_f64 v[20:21], v[22:23], v15
	v_cmp_class_f64_e32 vcc, v[2:3], v30
	s_mov_b32 s7, 0x3ff71547
	v_cndmask_b32_e32 v3, v21, v3, vcc
	v_cndmask_b32_e32 v2, v20, v2, vcc
	v_mul_f64 v[20:21], v[12:13], s[6:7]
	s_mov_b32 s6, 0xfefa39ef
	v_rndne_f64_e32 v[20:21], v[20:21]
	s_mov_b32 s7, 0xbfe62e42
	v_fma_f64 v[22:23], s[6:7], v[20:21], v[12:13]
	s_mov_b32 s6, 0x3b39803f
	s_mov_b32 s7, 0xbc7abc9e
	v_fmac_f64_e32 v[22:23], s[6:7], v[20:21]
	s_mov_b32 s6, 0x6a5dcb37
	v_mov_b32_e32 v24, 0xfca7ab0c
	v_mov_b32_e32 v25, 0x3e928af3
	s_mov_b32 s7, 0x3e5ade15
	v_fmac_f64_e32 v[24:25], s[6:7], v[22:23]
	v_mov_b32_e32 v26, 0x623fde64
	v_mov_b32_e32 v27, 0x3ec71dee
	v_fmac_f64_e32 v[26:27], v[22:23], v[24:25]
	v_mov_b32_e32 v24, 0x7c89e6b0
	v_mov_b32_e32 v25, 0x3efa0199
	;; [unrolled: 3-line block ×8, first 2 shown]
	s_mov_b32 s6, 0
	v_fmac_f64_e32 v[24:25], v[22:23], v[26:27]
	s_mov_b32 s7, 0x40900000
	v_fma_f64 v[24:25], v[22:23], v[24:25], 1.0
	v_cmp_nlt_f64_e32 vcc, s[6:7], v[12:13]
	s_mov_b32 s6, 0
	v_fma_f64 v[22:23], v[22:23], v[24:25], 1.0
	v_cvt_i32_f64_e32 v15, v[20:21]
	s_mov_b32 s7, 0xc090cc00
	v_ldexp_f64 v[20:21], v[22:23], v15
	v_mov_b32_e32 v15, 0x7ff00000
	v_cmp_ngt_f64_e64 s[6:7], s[6:7], v[12:13]
	v_cndmask_b32_e32 v15, v15, v21, vcc
	s_and_b64 vcc, s[6:7], vcc
	v_add_f64 v[2:3], v[2:3], v[2:3]
	v_cndmask_b32_e64 v13, 0, v15, s[6:7]
	v_cndmask_b32_e32 v12, 0, v20, vcc
	v_mul_f64 v[2:3], v[2:3], v[12:13]
	v_div_scale_f64 v[12:13], s[6:7], v[2:3], v[2:3], v[18:19]
	v_rcp_f64_e32 v[20:21], v[12:13]
	s_mov_b32 s6, 0xfd0a823a
	s_mov_b32 s7, 0x4020a402
	v_fma_f64 v[22:23], -v[12:13], v[20:21], 1.0
	v_fmac_f64_e32 v[20:21], v[20:21], v[22:23]
	v_fma_f64 v[22:23], -v[12:13], v[20:21], 1.0
	v_fmac_f64_e32 v[20:21], v[20:21], v[22:23]
	v_div_scale_f64 v[22:23], vcc, v[18:19], v[2:3], v[18:19]
	v_mul_f64 v[24:25], v[22:23], v[20:21]
	v_fma_f64 v[12:13], -v[12:13], v[24:25], v[22:23]
	s_nop 1
	v_div_fmas_f64 v[12:13], v[12:13], v[20:21], v[24:25]
	v_cmp_nlt_f64_e32 vcc, s[6:7], v[16:17]
	s_andn2_b64 s[6:7], s[16:17], exec
	s_and_b64 s[20:21], vcc, exec
	v_div_fixup_f64 v[12:13], v[12:13], v[2:3], v[18:19]
	s_or_b64 s[6:7], s[6:7], s[20:21]
.LBB0_86:
	s_or_b64 exec, exec, s[18:19]
	s_and_saveexec_b64 s[18:19], s[6:7]
	s_cbranch_execz .LBB0_90
; %bb.87:
	v_mov_b32_e32 v24, 0
	v_mul_f64 v[2:3], v[16:17], v[16:17]
	v_mov_b32_e32 v25, 0x3ff00000
	s_mov_b32 s22, 0
	v_mul_f64 v[18:19], v[16:17], v[2:3]
	s_mov_b64 s[20:21], 0
	s_mov_b32 s23, 0x3cb00000
	v_pk_mov_b32 v[22:23], v[24:25], v[24:25] op_sel:[0,1]
	v_pk_mov_b32 v[20:21], v[16:17], v[16:17] op_sel:[0,1]
	;; [unrolled: 1-line block ×3, first 2 shown]
.LBB0_88:                               ; =>This Inner Loop Header: Depth=1
	v_mul_f64 v[24:25], v[18:19], v[24:25]
	v_add_f64 v[26:27], v[22:23], 1.0
	v_mul_f64 v[16:17], v[18:19], v[16:17]
	v_div_scale_f64 v[28:29], s[6:7], v[26:27], v[26:27], v[24:25]
	v_add_f64 v[32:33], v[26:27], 1.0
	v_rcp_f64_e32 v[34:35], v[28:29]
	v_div_scale_f64 v[38:39], s[6:7], v[32:33], v[32:33], v[16:17]
	v_rcp_f64_e32 v[50:51], v[38:39]
	v_fma_f64 v[52:53], -v[28:29], v[34:35], 1.0
	v_fmac_f64_e32 v[34:35], v[34:35], v[52:53]
	v_fma_f64 v[54:55], -v[28:29], v[34:35], 1.0
	v_fma_f64 v[52:53], -v[38:39], v[50:51], 1.0
	v_fmac_f64_e32 v[50:51], v[50:51], v[52:53]
	v_div_scale_f64 v[30:31], vcc, v[24:25], v[26:27], v[24:25]
	v_fmac_f64_e32 v[34:35], v[34:35], v[54:55]
	v_fma_f64 v[52:53], -v[38:39], v[50:51], 1.0
	v_div_scale_f64 v[48:49], s[6:7], v[16:17], v[32:33], v[16:17]
	v_mul_f64 v[54:55], v[30:31], v[34:35]
	v_fmac_f64_e32 v[50:51], v[50:51], v[52:53]
	v_fma_f64 v[28:29], -v[28:29], v[54:55], v[30:31]
	v_mul_f64 v[30:31], v[48:49], v[50:51]
	v_div_fmas_f64 v[28:29], v[28:29], v[34:35], v[54:55]
	v_fma_f64 v[34:35], -v[38:39], v[30:31], v[48:49]
	s_mov_b64 vcc, s[6:7]
	v_div_fixup_f64 v[24:25], v[28:29], v[26:27], v[24:25]
	v_div_fmas_f64 v[26:27], v[34:35], v[50:51], v[30:31]
	v_div_fixup_f64 v[16:17], v[26:27], v[32:33], v[16:17]
	v_div_scale_f64 v[26:27], s[6:7], v[32:33], v[32:33], v[24:25]
	v_add_f64 v[22:23], v[32:33], 1.0
	v_rcp_f64_e32 v[30:31], v[26:27]
	v_div_scale_f64 v[34:35], s[6:7], v[22:23], v[22:23], v[16:17]
	v_rcp_f64_e32 v[48:49], v[34:35]
	v_fma_f64 v[50:51], -v[26:27], v[30:31], 1.0
	v_fmac_f64_e32 v[30:31], v[30:31], v[50:51]
	v_fma_f64 v[52:53], -v[26:27], v[30:31], 1.0
	v_fma_f64 v[50:51], -v[34:35], v[48:49], 1.0
	v_div_scale_f64 v[28:29], vcc, v[24:25], v[32:33], v[24:25]
	v_fmac_f64_e32 v[48:49], v[48:49], v[50:51]
	v_fmac_f64_e32 v[30:31], v[30:31], v[52:53]
	v_fma_f64 v[50:51], -v[34:35], v[48:49], 1.0
	v_mul_f64 v[52:53], v[28:29], v[30:31]
	v_div_scale_f64 v[38:39], s[6:7], v[16:17], v[22:23], v[16:17]
	v_fmac_f64_e32 v[48:49], v[48:49], v[50:51]
	v_fma_f64 v[26:27], -v[26:27], v[52:53], v[28:29]
	v_mul_f64 v[28:29], v[38:39], v[48:49]
	v_div_fmas_f64 v[26:27], v[26:27], v[30:31], v[52:53]
	v_fma_f64 v[30:31], -v[34:35], v[28:29], v[38:39]
	v_div_fixup_f64 v[24:25], v[26:27], v[32:33], v[24:25]
	s_mov_b64 vcc, s[6:7]
	v_div_fmas_f64 v[26:27], v[30:31], v[48:49], v[28:29]
	v_add_f64 v[2:3], v[2:3], v[24:25]
	v_div_fixup_f64 v[16:17], v[26:27], v[22:23], v[16:17]
	v_div_scale_f64 v[26:27], s[6:7], v[2:3], v[2:3], v[24:25]
	v_rcp_f64_e32 v[28:29], v[26:27]
	v_div_scale_f64 v[30:31], vcc, v[24:25], v[2:3], v[24:25]
	v_add_f64 v[20:21], v[20:21], v[16:17]
	v_fma_f64 v[32:33], -v[26:27], v[28:29], 1.0
	v_fmac_f64_e32 v[28:29], v[28:29], v[32:33]
	v_fma_f64 v[32:33], -v[26:27], v[28:29], 1.0
	v_fmac_f64_e32 v[28:29], v[28:29], v[32:33]
	v_mul_f64 v[32:33], v[30:31], v[28:29]
	v_fma_f64 v[26:27], -v[26:27], v[32:33], v[30:31]
	v_div_fmas_f64 v[26:27], v[26:27], v[28:29], v[32:33]
	v_div_fixup_f64 v[26:27], v[26:27], v[2:3], v[24:25]
	v_cmp_ngt_f64_e64 s[6:7], |v[26:27]|, s[22:23]
	s_or_b64 s[20:21], s[6:7], s[20:21]
	s_andn2_b64 exec, exec, s[20:21]
	s_cbranch_execnz .LBB0_88
; %bb.89:
	s_or_b64 exec, exec, s[20:21]
	s_mov_b32 s6, 0x42b70f8b
	s_mov_b32 s7, 0xbfd0907f
	v_mul_f64 v[16:17], v[20:21], s[6:7]
	s_mov_b32 s6, 0x962715b8
	s_mov_b32 s7, 0x3fd6b8c7
	v_fmac_f64_e32 v[16:17], s[6:7], v[2:3]
	v_cndmask_b32_e64 v13, v13, v17, s[16:17]
	v_cndmask_b32_e64 v12, v12, v16, s[16:17]
.LBB0_90:
	s_or_b64 exec, exec, s[18:19]
                                        ; implicit-def: $vgpr16_vgpr17
.LBB0_91:
	s_andn2_saveexec_b64 s[14:15], s[14:15]
	s_cbranch_execz .LBB0_105
; %bb.92:
	s_mov_b32 s6, 0
	s_brev_b32 s7, 9
	v_cmp_lt_f64_e32 vcc, s[6:7], v[16:17]
	v_cndmask_b32_e64 v2, 0, 1, vcc
	v_lshlrev_b32_e32 v2, 8, v2
	v_ldexp_f64 v[2:3], -v[16:17], v2
	v_rsq_f64_e32 v[12:13], v[2:3]
	v_mov_b32_e32 v15, 0x260
	v_mul_f64 v[16:17], v[16:17], -2.0
	s_mov_b32 s16, 0
	v_mul_f64 v[18:19], v[2:3], v[12:13]
	v_mul_f64 v[12:13], v[12:13], 0.5
	v_fma_f64 v[20:21], -v[12:13], v[18:19], 0.5
	v_fmac_f64_e32 v[18:19], v[18:19], v[20:21]
	v_fma_f64 v[22:23], -v[18:19], v[18:19], v[2:3]
	v_fmac_f64_e32 v[12:13], v[12:13], v[20:21]
	v_fmac_f64_e32 v[18:19], v[22:23], v[12:13]
	v_fma_f64 v[20:21], -v[18:19], v[18:19], v[2:3]
	v_fmac_f64_e32 v[18:19], v[20:21], v[12:13]
	v_mov_b32_e32 v12, 0xffffff80
	v_cndmask_b32_e32 v12, 0, v12, vcc
	v_ldexp_f64 v[12:13], v[18:19], v12
	v_cmp_class_f64_e32 vcc, v[2:3], v15
	v_cndmask_b32_e32 v3, v13, v3, vcc
	v_cndmask_b32_e32 v2, v12, v2, vcc
	v_mul_f64 v[12:13], v[16:17], v[2:3]
	s_mov_b32 s17, 0x40080000
	v_div_scale_f64 v[16:17], s[6:7], s[16:17], s[16:17], v[12:13]
	v_rcp_f64_e32 v[18:19], v[16:17]
	s_mov_b32 s19, 0x3fe921fb
	s_mov_b32 s18, 0x54442d18
	s_movk_i32 s6, 0xff80
	v_fma_f64 v[20:21], -v[16:17], v[18:19], 1.0
	v_fmac_f64_e32 v[18:19], v[18:19], v[20:21]
	v_fma_f64 v[20:21], -v[16:17], v[18:19], 1.0
	v_fmac_f64_e32 v[18:19], v[18:19], v[20:21]
	v_div_scale_f64 v[20:21], vcc, v[12:13], s[16:17], v[12:13]
	v_mul_f64 v[22:23], v[20:21], v[18:19]
	v_fma_f64 v[16:17], -v[16:17], v[22:23], v[20:21]
                                        ; implicit-def: $vgpr32
                                        ; implicit-def: $vgpr24_vgpr25
	s_nop 1
	v_div_fmas_f64 v[16:17], v[16:17], v[18:19], v[22:23]
	v_div_fixup_f64 v[20:21], v[16:17], s[16:17], v[12:13]
	s_mov_b32 s16, 0
	v_add_f64 v[12:13], v[20:21], s[18:19]
	s_mov_b32 s17, 0x41d00000
	v_cmp_nlt_f64_e64 s[16:17], |v[12:13]|, s[16:17]
	v_trig_preop_f64 v[30:31], |v[12:13]|, 0
	v_trig_preop_f64 v[28:29], |v[12:13]|, 1
	;; [unrolled: 1-line block ×3, first 2 shown]
                                        ; implicit-def: $vgpr22_vgpr23
	s_and_saveexec_b64 s[20:21], s[16:17]
	s_xor_b64 s[20:21], exec, s[20:21]
	s_cbranch_execz .LBB0_98
; %bb.93:
	s_mov_b32 s22, 0
	s_mov_b32 s23, 0x7b000000
	v_and_b32_e32 v15, 0x7fffffff, v13
	v_ldexp_f64 v[16:17], |v[12:13]|, s6
	v_cmp_ge_f64_e64 vcc, |v[12:13]|, s[22:23]
	v_cndmask_b32_e32 v17, v15, v17, vcc
	v_cndmask_b32_e32 v16, v12, v16, vcc
	v_mul_f64 v[22:23], v[30:31], v[16:17]
	v_mul_f64 v[18:19], v[28:29], v[16:17]
	v_fma_f64 v[24:25], v[30:31], v[16:17], -v[22:23]
	v_add_f64 v[32:33], v[18:19], v[24:25]
	v_add_f64 v[34:35], v[22:23], v[32:33]
	s_mov_b32 s6, 0
	v_ldexp_f64 v[38:39], v[34:35], -2
	s_mov_b32 s7, 0x7ff00000
	v_fract_f64_e32 v[48:49], v[38:39]
	v_cmp_neq_f64_e64 vcc, |v[38:39]|, s[6:7]
	v_cndmask_b32_e32 v39, 0, v49, vcc
	v_cndmask_b32_e32 v38, 0, v48, vcc
	v_add_f64 v[48:49], v[32:33], -v[18:19]
	v_add_f64 v[24:25], v[24:25], -v[48:49]
	;; [unrolled: 1-line block ×4, first 2 shown]
	v_add_f64 v[24:25], v[24:25], v[48:49]
	v_fma_f64 v[18:19], v[28:29], v[16:17], -v[18:19]
	v_mul_f64 v[48:49], v[26:27], v[16:17]
	v_add_f64 v[52:53], v[48:49], v[18:19]
	v_add_f64 v[54:55], v[52:53], v[24:25]
	v_add_f64 v[22:23], v[34:35], -v[22:23]
	v_add_f64 v[34:35], v[54:55], -v[52:53]
	;; [unrolled: 1-line block ×5, first 2 shown]
	v_add_f64 v[24:25], v[24:25], v[34:35]
	v_add_f64 v[34:35], v[52:53], -v[48:49]
	v_add_f64 v[18:19], v[18:19], -v[34:35]
	;; [unrolled: 1-line block ×5, first 2 shown]
	v_add_f64 v[32:33], v[22:23], v[54:55]
	v_add_f64 v[18:19], v[18:19], v[34:35]
	v_add_f64 v[22:23], v[32:33], -v[22:23]
	v_add_f64 v[18:19], v[18:19], v[24:25]
	v_fma_f64 v[16:17], v[26:27], v[16:17], -v[48:49]
	v_add_f64 v[22:23], v[54:55], -v[22:23]
	v_add_f64 v[16:17], v[16:17], v[18:19]
	v_ldexp_f64 v[18:19], v[38:39], 2
	v_add_f64 v[16:17], v[22:23], v[16:17]
	v_add_f64 v[22:23], v[32:33], v[18:19]
	v_mov_b32_e32 v15, 0x40100000
	v_cmp_gt_f64_e32 vcc, 0, v[22:23]
	v_mov_b32_e32 v50, 0
	v_cndmask_b32_e32 v51, 0, v15, vcc
	v_add_f64 v[18:19], v[18:19], v[50:51]
	v_add_f64 v[22:23], v[32:33], v[18:19]
	v_cvt_i32_f64_e32 v15, v[22:23]
	v_cvt_f64_i32_e32 v[22:23], v15
	v_add_f64 v[18:19], v[18:19], -v[22:23]
	v_add_f64 v[22:23], v[32:33], v[18:19]
	v_add_f64 v[18:19], v[22:23], -v[18:19]
	v_cmp_le_f64_e32 vcc, 0.5, v[22:23]
	v_add_f64 v[18:19], v[32:33], -v[18:19]
	v_addc_co_u32_e64 v32, s[6:7], 0, v15, vcc
	v_mov_b32_e32 v15, 0x3ff00000
	v_cndmask_b32_e32 v51, 0, v15, vcc
	v_add_f64 v[16:17], v[16:17], v[18:19]
	v_add_f64 v[18:19], v[22:23], -v[50:51]
	v_add_f64 v[22:23], v[18:19], v[16:17]
	v_add_f64 v[18:19], v[22:23], -v[18:19]
	s_mov_b32 s19, 0x3ff921fb
	v_add_f64 v[16:17], v[16:17], -v[18:19]
	v_mul_f64 v[18:19], v[22:23], s[18:19]
	s_mov_b32 s6, 0x33145c07
	v_fma_f64 v[24:25], v[22:23], s[18:19], -v[18:19]
	s_mov_b32 s7, 0x3c91a626
	v_fmac_f64_e32 v[24:25], s[6:7], v[22:23]
	v_fmac_f64_e32 v[24:25], s[18:19], v[16:17]
	v_add_f64 v[22:23], v[18:19], v[24:25]
	v_add_f64 v[16:17], v[22:23], -v[18:19]
	v_add_f64 v[24:25], v[24:25], -v[16:17]
	s_andn2_saveexec_b64 s[6:7], s[20:21]
	s_cbranch_execz .LBB0_100
	s_branch .LBB0_99
.LBB0_94:
	s_or_b64 exec, exec, s[8:9]
	s_and_saveexec_b64 s[6:7], s[4:5]
	s_xor_b64 s[4:5], exec, s[6:7]
	s_cbranch_execz .LBB0_108
.LBB0_95:
	v_mov_b32_e32 v15, 0
	v_lshlrev_b64 v[2:3], 3, v[14:15]
	v_add_co_u32_e32 v2, vcc, v0, v2
	v_addc_co_u32_e32 v3, vcc, v1, v3, vcc
	v_mov_b32_e32 v5, v36
	flat_store_dwordx2 v[2:3], v[6:7]
	s_or_b64 exec, exec, s[4:5]
	v_cmp_lt_i32_e32 vcc, v5, v4
	s_and_saveexec_b64 s[4:5], vcc
	s_cbranch_execnz .LBB0_109
.LBB0_96:
	s_or_b64 exec, exec, s[4:5]
	v_cmp_lt_i32_e32 vcc, v5, v4
	s_and_saveexec_b64 s[4:5], vcc
	s_cbranch_execz .LBB0_110
.LBB0_97:
	v_add_u32_e32 v2, s38, v5
	v_mov_b32_e32 v3, 0
	v_lshlrev_b64 v[2:3], 3, v[2:3]
	v_add_co_u32_e32 v2, vcc, v0, v2
	v_addc_co_u32_e32 v3, vcc, v1, v3, vcc
	v_add_u32_e32 v5, 0x100, v5
	flat_store_dwordx2 v[2:3], v[10:11]
	s_or_b64 exec, exec, s[4:5]
	v_cmp_lt_i32_e32 vcc, v5, v4
	s_and_saveexec_b64 s[4:5], vcc
	s_cbranch_execnz .LBB0_111
	s_branch .LBB0_112
.LBB0_98:
	s_andn2_saveexec_b64 s[6:7], s[20:21]
	s_cbranch_execz .LBB0_100
.LBB0_99:
	s_mov_b32 s18, 0x6dc9c883
	s_mov_b32 s19, 0x3fe45f30
	v_mul_f64 v[16:17], |v[12:13]|, s[18:19]
	s_mov_b32 s18, 0x54442d18
	v_rndne_f64_e32 v[16:17], v[16:17]
	s_mov_b32 s19, 0xbff921fb
	v_fma_f64 v[18:19], v[16:17], s[18:19], |v[12:13]|
	s_mov_b32 s19, 0xbc91a626
	s_mov_b32 s18, 0x33145c00
	v_mul_f64 v[22:23], v[16:17], s[18:19]
	v_add_f64 v[34:35], v[18:19], v[22:23]
	v_fma_f64 v[24:25], s[18:19], v[16:17], v[18:19]
	s_mov_b32 s19, 0x3c91a626
	v_add_f64 v[18:19], v[18:19], -v[34:35]
	v_fma_f64 v[32:33], s[18:19], v[16:17], v[22:23]
	v_add_f64 v[18:19], v[18:19], v[22:23]
	v_add_f64 v[22:23], v[34:35], -v[24:25]
	v_add_f64 v[18:19], v[22:23], v[18:19]
	s_mov_b32 s18, 0x252049c0
	v_add_f64 v[18:19], v[18:19], -v[32:33]
	s_mov_b32 s19, 0xb97b839a
	v_fmac_f64_e32 v[18:19], s[18:19], v[16:17]
	v_add_f64 v[22:23], v[24:25], v[18:19]
	v_add_f64 v[24:25], v[22:23], -v[24:25]
	v_add_f64 v[24:25], v[18:19], -v[24:25]
	v_cvt_i32_f64_e32 v32, v[16:17]
.LBB0_100:
	s_or_b64 exec, exec, s[6:7]
                                        ; implicit-def: $vgpr15
                                        ; implicit-def: $vgpr16_vgpr17
                                        ; implicit-def: $vgpr18_vgpr19
	s_and_saveexec_b64 s[6:7], s[16:17]
	s_xor_b64 s[16:17], exec, s[6:7]
	s_cbranch_execz .LBB0_102
; %bb.101:
	s_mov_b32 s6, 0
	s_mov_b32 s7, 0x7b000000
	s_movk_i32 s18, 0xff80
	v_and_b32_e32 v15, 0x7fffffff, v13
	v_ldexp_f64 v[16:17], |v[12:13]|, s18
	v_cmp_ge_f64_e64 vcc, |v[12:13]|, s[6:7]
	v_cndmask_b32_e32 v17, v15, v17, vcc
	v_cndmask_b32_e32 v16, v12, v16, vcc
	v_mul_f64 v[34:35], v[30:31], v[16:17]
	v_mul_f64 v[18:19], v[28:29], v[16:17]
	v_fma_f64 v[30:31], v[30:31], v[16:17], -v[34:35]
	v_add_f64 v[38:39], v[18:19], v[30:31]
	v_add_f64 v[48:49], v[34:35], v[38:39]
	s_mov_b32 s6, 0
	v_ldexp_f64 v[50:51], v[48:49], -2
	s_mov_b32 s7, 0x7ff00000
	v_fract_f64_e32 v[52:53], v[50:51]
	v_cmp_neq_f64_e64 vcc, |v[50:51]|, s[6:7]
	v_cndmask_b32_e32 v51, 0, v53, vcc
	v_cndmask_b32_e32 v50, 0, v52, vcc
	v_add_f64 v[52:53], v[38:39], -v[18:19]
	v_add_f64 v[30:31], v[30:31], -v[52:53]
	;; [unrolled: 1-line block ×4, first 2 shown]
	v_fma_f64 v[18:19], v[28:29], v[16:17], -v[18:19]
	v_mul_f64 v[28:29], v[26:27], v[16:17]
	v_add_f64 v[30:31], v[30:31], v[52:53]
	v_add_f64 v[52:53], v[28:29], v[18:19]
	;; [unrolled: 1-line block ×3, first 2 shown]
	v_add_f64 v[34:35], v[48:49], -v[34:35]
	v_add_f64 v[48:49], v[64:65], -v[52:53]
	;; [unrolled: 1-line block ×5, first 2 shown]
	v_add_f64 v[30:31], v[30:31], v[48:49]
	v_add_f64 v[48:49], v[52:53], -v[28:29]
	v_add_f64 v[18:19], v[18:19], -v[48:49]
	v_add_f64 v[48:49], v[52:53], -v[48:49]
	v_add_f64 v[48:49], v[28:29], -v[48:49]
	v_add_f64 v[18:19], v[18:19], v[48:49]
	v_add_f64 v[34:35], v[38:39], -v[34:35]
	v_add_f64 v[18:19], v[18:19], v[30:31]
	v_fma_f64 v[16:17], v[26:27], v[16:17], -v[28:29]
	v_add_f64 v[38:39], v[34:35], v[64:65]
	v_add_f64 v[16:17], v[16:17], v[18:19]
	v_ldexp_f64 v[18:19], v[50:51], 2
	v_add_f64 v[26:27], v[38:39], v[18:19]
	v_mov_b32_e32 v15, 0x40100000
	v_cmp_gt_f64_e32 vcc, 0, v[26:27]
	v_mov_b32_e32 v54, 0
	v_cndmask_b32_e32 v55, 0, v15, vcc
	v_add_f64 v[18:19], v[18:19], v[54:55]
	v_add_f64 v[26:27], v[38:39], v[18:19]
	v_cvt_i32_f64_e32 v15, v[26:27]
	v_cvt_f64_i32_e32 v[26:27], v15
	v_add_f64 v[18:19], v[18:19], -v[26:27]
	v_add_f64 v[34:35], v[38:39], -v[34:35]
	v_add_f64 v[26:27], v[38:39], v[18:19]
	v_add_f64 v[34:35], v[64:65], -v[34:35]
	v_add_f64 v[18:19], v[26:27], -v[18:19]
	v_add_f64 v[16:17], v[34:35], v[16:17]
	v_add_f64 v[18:19], v[38:39], -v[18:19]
	v_add_f64 v[16:17], v[16:17], v[18:19]
	v_cmp_le_f64_e32 vcc, 0.5, v[26:27]
	v_mov_b32_e32 v18, 0x3ff00000
	v_cndmask_b32_e32 v55, 0, v18, vcc
	v_addc_co_u32_e64 v15, s[6:7], 0, v15, vcc
	v_add_f64 v[18:19], v[26:27], -v[54:55]
	v_add_f64 v[26:27], v[18:19], v[16:17]
	s_mov_b32 s6, 0x54442d18
	v_add_f64 v[18:19], v[26:27], -v[18:19]
	s_mov_b32 s7, 0x3ff921fb
	v_add_f64 v[16:17], v[16:17], -v[18:19]
	v_mul_f64 v[18:19], v[26:27], s[6:7]
	s_mov_b32 s18, 0x33145c07
	v_fma_f64 v[28:29], v[26:27], s[6:7], -v[18:19]
	s_mov_b32 s19, 0x3c91a626
	v_fmac_f64_e32 v[28:29], s[18:19], v[26:27]
	v_fmac_f64_e32 v[28:29], s[6:7], v[16:17]
	v_add_f64 v[16:17], v[18:19], v[28:29]
	v_add_f64 v[18:19], v[16:17], -v[18:19]
	v_add_f64 v[18:19], v[28:29], -v[18:19]
	s_andn2_saveexec_b64 s[6:7], s[16:17]
	s_cbranch_execnz .LBB0_103
	s_branch .LBB0_104
.LBB0_102:
	s_andn2_saveexec_b64 s[6:7], s[16:17]
	s_cbranch_execz .LBB0_104
.LBB0_103:
	s_mov_b32 s16, 0x6dc9c883
	s_mov_b32 s17, 0x3fe45f30
	v_mul_f64 v[16:17], |v[12:13]|, s[16:17]
	s_mov_b32 s16, 0x54442d18
	v_rndne_f64_e32 v[26:27], v[16:17]
	s_mov_b32 s17, 0xbff921fb
	v_fma_f64 v[16:17], v[26:27], s[16:17], |v[12:13]|
	s_mov_b32 s17, 0xbc91a626
	s_mov_b32 s16, 0x33145c00
	v_mul_f64 v[28:29], v[26:27], s[16:17]
	v_add_f64 v[34:35], v[16:17], v[28:29]
	v_fma_f64 v[18:19], s[16:17], v[26:27], v[16:17]
	s_mov_b32 s17, 0x3c91a626
	v_add_f64 v[16:17], v[16:17], -v[34:35]
	v_fma_f64 v[30:31], s[16:17], v[26:27], v[28:29]
	v_add_f64 v[16:17], v[16:17], v[28:29]
	v_add_f64 v[28:29], v[34:35], -v[18:19]
	v_add_f64 v[16:17], v[28:29], v[16:17]
	s_mov_b32 s16, 0x252049c0
	v_add_f64 v[28:29], v[16:17], -v[30:31]
	s_mov_b32 s17, 0xb97b839a
	v_fmac_f64_e32 v[28:29], s[16:17], v[26:27]
	v_add_f64 v[16:17], v[18:19], v[28:29]
	v_add_f64 v[18:19], v[16:17], -v[18:19]
	v_add_f64 v[18:19], v[28:29], -v[18:19]
	v_cvt_i32_f64_e32 v15, v[26:27]
.LBB0_104:
	s_or_b64 exec, exec, s[6:7]
	v_div_scale_f64 v[26:27], s[6:7], v[20:21], v[20:21], 1.0
	v_rcp_f64_e32 v[28:29], v[26:27]
	v_div_scale_f64 v[30:31], vcc, 1.0, v[20:21], 1.0
	v_mov_b32_e32 v38, 0xb99518a7
	v_fma_f64 v[34:35], -v[26:27], v[28:29], 1.0
	v_fmac_f64_e32 v[28:29], v[28:29], v[34:35]
	v_fma_f64 v[34:35], -v[26:27], v[28:29], 1.0
	v_fmac_f64_e32 v[28:29], v[28:29], v[34:35]
	v_mul_f64 v[34:35], v[30:31], v[28:29]
	v_fma_f64 v[26:27], -v[26:27], v[34:35], v[30:31]
	v_div_fmas_f64 v[26:27], v[26:27], v[28:29], v[34:35]
	v_div_fixup_f64 v[20:21], v[26:27], v[20:21], 1.0
	v_mul_f64 v[26:27], v[20:21], v[20:21]
	v_mov_b32_e32 v28, 0xd50ae6fb
	v_mov_b32_e32 v29, 0xbfc0db6c
	v_fmac_f64_e32 v[28:29], 0, v[26:27]
	v_mov_b32_e32 v30, 0x98566852
	v_mov_b32_e32 v31, 0xbfe40bee
	v_fmac_f64_e32 v[30:31], v[26:27], v[28:29]
	v_mov_b32_e32 v28, 0xc2f79f7d
	v_mov_b32_e32 v29, 0xbfe62e59
	v_fmac_f64_e32 v[28:29], v[26:27], v[30:31]
	v_mov_b32_e32 v30, 0x4bb3f40b
	v_mov_b32_e32 v31, 0xbfd1e7ea
	v_fmac_f64_e32 v[30:31], v[26:27], v[28:29]
	v_mov_b32_e32 v28, 0xf47dbd8a
	v_mov_b32_e32 v29, 0xbfa92f6e
	v_fmac_f64_e32 v[28:29], v[26:27], v[30:31]
	v_mov_b32_e32 v30, 0xc8d9e090
	v_mov_b32_e32 v31, 0xbf70a401
	v_fmac_f64_e32 v[30:31], v[26:27], v[28:29]
	v_mov_b32_e32 v28, 0xaf4b009c
	v_mov_b32_e32 v29, 0xbf24e06e
	v_fmac_f64_e32 v[28:29], v[26:27], v[30:31]
	v_mov_b32_e32 v30, 0x1d42366d
	v_mov_b32_e32 v31, 0xbec74a78
	v_fmac_f64_e32 v[30:31], v[26:27], v[28:29]
	v_mov_b32_e32 v28, 0x2572edf2
	v_mov_b32_e32 v29, 0x402ab64b
	v_fmac_f64_e32 v[28:29], 0, v[26:27]
	v_mov_b32_e32 v34, 0x44787b1a
	v_mov_b32_e32 v35, 0x4040575c
	v_fmac_f64_e32 v[34:35], v[26:27], v[28:29]
	v_mov_b32_e32 v28, 0xa3b73410
	v_mov_b32_e32 v29, 0x403abc98
	v_fmac_f64_e32 v[28:29], v[26:27], v[34:35]
	v_mov_b32_e32 v34, 0x2ac99873
	v_mov_b32_e32 v35, 0x40225fc8
	v_fmac_f64_e32 v[34:35], v[26:27], v[28:29]
	v_mov_b32_e32 v28, 0x39de9319
	v_mov_b32_e32 v29, 0x3ff79acb
	v_fmac_f64_e32 v[28:29], v[26:27], v[34:35]
	v_mov_b32_e32 v34, 0xb4045a2b
	v_mov_b32_e32 v35, 0x3fbd9dac
	v_fmac_f64_e32 v[34:35], v[26:27], v[28:29]
	v_mov_b32_e32 v28, 0xe03af617
	v_mov_b32_e32 v29, 0x3f7208ca
	v_fmac_f64_e32 v[28:29], v[26:27], v[34:35]
	v_mov_b32_e32 v34, 0xaf76e73b
	v_mov_b32_e32 v35, 0x3f13c8d7
	v_fmac_f64_e32 v[34:35], v[26:27], v[28:29]
	v_mov_b32_e32 v39, 0x3e9e52b9
	v_mul_f64 v[48:49], v[22:23], v[22:23]
	v_fmac_f64_e32 v[38:39], v[26:27], v[34:35]
	v_mov_b32_e32 v34, 0xf68ea2d2
	v_mov_b32_e32 v35, 0xbe52041c
	v_mul_f64 v[28:29], v[48:49], 0.5
	v_fmac_f64_e32 v[34:35], v[26:27], v[30:31]
	v_add_f64 v[30:31], -v[28:29], 1.0
	s_mov_b32 s6, 0x9037ab78
	v_add_f64 v[50:51], -v[30:31], 1.0
	s_mov_b32 s7, 0x3e21eeb6
	s_mov_b32 s16, 0x46cc5e42
	v_add_f64 v[50:51], v[50:51], -v[28:29]
	s_mov_b32 s17, 0xbda907db
	v_pk_mov_b32 v[28:29], s[6:7], s[6:7] op_sel:[0,1]
	s_mov_b32 s18, 0xa17f65f6
	v_fma_f64 v[54:55], s[16:17], v[48:49], v[28:29]
	s_mov_b32 s19, 0xbe927e4f
	s_mov_b32 s20, 0x19f4ec90
	v_fma_f64 v[54:55], v[48:49], v[54:55], s[18:19]
	s_mov_b32 s21, 0x3efa01a0
	;; [unrolled: 3-line block ×4, first 2 shown]
	v_mul_f64 v[52:53], v[48:49], v[48:49]
	v_fma_f64 v[54:55], v[48:49], v[54:55], s[24:25]
	v_fma_f64 v[50:51], v[22:23], -v[24:25], v[50:51]
	s_mov_b32 s6, 0xb42fdfa7
	v_fmac_f64_e32 v[50:51], v[52:53], v[54:55]
	s_mov_b32 s7, 0xbe5ae600
	s_mov_b32 s26, 0xf9a43bb8
	v_add_f64 v[50:51], v[30:31], v[50:51]
	s_mov_b32 s27, 0x3de5e0b2
	v_pk_mov_b32 v[30:31], s[6:7], s[6:7] op_sel:[0,1]
	s_mov_b32 s28, 0x796cde01
	v_fma_f64 v[52:53], s[26:27], v[48:49], v[30:31]
	s_mov_b32 s29, 0x3ec71de3
	s_mov_b32 s30, 0x19e83e5c
	v_fma_f64 v[52:53], v[48:49], v[52:53], s[28:29]
	s_mov_b32 s31, 0xbf2a01a0
	;; [unrolled: 3-line block ×3, first 2 shown]
	v_fma_f64 v[52:53], v[48:49], v[52:53], s[34:35]
	v_mul_f64 v[54:55], v[22:23], -v[48:49]
	v_mul_f64 v[64:65], v[24:25], 0.5
	v_fmac_f64_e32 v[64:65], v[54:55], v[52:53]
	v_fma_f64 v[24:25], v[48:49], v[64:65], -v[24:25]
	s_mov_b32 s37, 0xbfc55555
	s_mov_b32 s36, s24
	v_fmac_f64_e32 v[24:25], s[36:37], v[54:55]
	v_add_f64 v[22:23], v[22:23], -v[24:25]
	v_and_b32_e32 v24, 1, v32
	v_cmp_eq_u32_e32 vcc, 0, v24
	v_cndmask_b32_e32 v37, v50, v22, vcc
	v_cndmask_b32_e32 v22, v51, v23, vcc
	v_lshlrev_b32_e32 v23, 30, v32
	v_xor_b32_e32 v23, v23, v13
	v_and_b32_e32 v23, 0x80000000, v23
	v_xor_b32_e32 v48, v22, v23
	v_mul_f64 v[22:23], v[26:27], v[34:35]
	v_div_scale_f64 v[24:25], s[6:7], v[38:39], v[38:39], v[22:23]
	v_rcp_f64_e32 v[32:33], v[24:25]
	s_movk_i32 vcc_lo, 0x1f8
	v_cmp_class_f64_e64 s[6:7], v[12:13], vcc_lo
	v_cndmask_b32_e64 v12, 0, v37, s[6:7]
	v_fma_f64 v[34:35], -v[24:25], v[32:33], 1.0
	v_fmac_f64_e32 v[32:33], v[32:33], v[34:35]
	v_fma_f64 v[34:35], -v[24:25], v[32:33], 1.0
	v_mov_b32_e32 v37, 0x7ff80000
	v_fmac_f64_e32 v[32:33], v[32:33], v[34:35]
	v_div_scale_f64 v[34:35], vcc, v[22:23], v[38:39], v[22:23]
	v_cndmask_b32_e64 v13, v37, v48, s[6:7]
	v_mul_f64 v[48:49], v[34:35], v[32:33]
	v_fma_f64 v[24:25], -v[24:25], v[48:49], v[34:35]
	s_nop 0
	v_div_fmas_f64 v[24:25], v[24:25], v[32:33], v[48:49]
	v_div_fixup_f64 v[22:23], v[24:25], v[38:39], v[22:23]
	v_mov_b32_e32 v24, 0xddcfbbde
	v_mov_b32_e32 v25, 0x3f943525
	v_fmac_f64_e32 v[24:25], 0, v[26:27]
	v_mov_b32_e32 v32, 0x6437b7
	v_mov_b32_e32 v33, 0x3fd907d5
	v_fmac_f64_e32 v[32:33], v[26:27], v[24:25]
	;; [unrolled: 3-line block ×16, first 2 shown]
	v_mov_b32_e32 v34, 0xed64a9ee
	v_mov_b32_e32 v35, 0x3fb6221d
	s_mov_b32 vcc_lo, 0
	v_fmac_f64_e32 v[34:35], v[26:27], v[32:33]
	v_mov_b32_e32 v32, 0x6be393bb
	v_mov_b32_e32 v33, 0x3f70e704
	s_brev_b32 vcc_hi, 8
	v_fmac_f64_e32 v[32:33], v[26:27], v[34:35]
	v_mov_b32_e32 v34, 0xd603a5a0
	v_mov_b32_e32 v35, 0x3f1a8b61
	v_cmp_gt_f64_e32 vcc, vcc, v[2:3]
	v_fmac_f64_e32 v[34:35], v[26:27], v[32:33]
	v_cndmask_b32_e64 v32, 0, 1, vcc
	v_lshlrev_b32_e32 v32, 8, v32
	v_ldexp_f64 v[2:3], v[2:3], v32
	v_rsq_f64_e32 v[32:33], v[2:3]
	v_mov_b32_e32 v38, 0xdb0724e8
	v_mov_b32_e32 v39, 0x3eb3a845
	v_fmac_f64_e32 v[38:39], v[26:27], v[34:35]
	v_mul_f64 v[34:35], v[2:3], v[32:33]
	v_mul_f64 v[32:33], v[32:33], 0.5
	v_fma_f64 v[48:49], -v[32:33], v[34:35], 0.5
	v_fmac_f64_e32 v[34:35], v[34:35], v[48:49]
	v_fma_f64 v[50:51], -v[34:35], v[34:35], v[2:3]
	v_fmac_f64_e32 v[32:33], v[32:33], v[48:49]
	v_fmac_f64_e32 v[34:35], v[50:51], v[32:33]
	v_fma_f64 v[48:49], -v[34:35], v[34:35], v[2:3]
	v_fmac_f64_e32 v[34:35], v[48:49], v[32:33]
	v_mov_b32_e32 v32, 0xffffff80
	v_cndmask_b32_e32 v32, 0, v32, vcc
	v_ldexp_f64 v[32:33], v[34:35], v32
	v_mov_b32_e32 v34, 0x260
	v_cmp_class_f64_e32 vcc, v[2:3], v34
	s_mov_b32 s40, 0x50429b6d
	v_cndmask_b32_e32 v3, v33, v3, vcc
	v_cndmask_b32_e32 v2, v32, v2, vcc
	s_mov_b32 s41, 0x3fe20dd7
	v_div_scale_f64 v[32:33], vcc, v[2:3], v[2:3], s[40:41]
	v_rcp_f64_e32 v[34:35], v[32:33]
	v_mov_b32_e32 v48, 0x3dd589d4
	v_mov_b32_e32 v49, 0x3e351fc7
	v_fmac_f64_e32 v[48:49], v[26:27], v[38:39]
	v_fma_f64 v[26:27], -v[32:33], v[34:35], 1.0
	v_fmac_f64_e32 v[34:35], v[34:35], v[26:27]
	v_fma_f64 v[26:27], -v[32:33], v[34:35], 1.0
	v_fmac_f64_e32 v[34:35], v[34:35], v[26:27]
	v_div_scale_f64 v[26:27], vcc, s[40:41], v[2:3], s[40:41]
	v_mul_f64 v[38:39], v[26:27], v[34:35]
	v_fma_f64 v[26:27], -v[32:33], v[38:39], v[26:27]
	v_add_f64 v[22:23], v[22:23], 1.0
	s_nop 0
	v_div_fmas_f64 v[26:27], v[26:27], v[34:35], v[38:39]
	v_div_fixup_f64 v[2:3], v[26:27], v[2:3], s[40:41]
	v_mul_f64 v[26:27], v[16:17], v[16:17]
	v_mul_f64 v[32:33], v[26:27], 0.5
	v_fmac_f64_e32 v[28:29], s[16:17], v[26:27]
	v_add_f64 v[34:35], -v[32:33], 1.0
	v_fma_f64 v[28:29], v[26:27], v[28:29], s[18:19]
	v_add_f64 v[38:39], -v[34:35], 1.0
	v_fma_f64 v[28:29], v[26:27], v[28:29], s[20:21]
	v_add_f64 v[32:33], v[38:39], -v[32:33]
	v_fma_f64 v[28:29], v[26:27], v[28:29], s[22:23]
	v_fmac_f64_e32 v[30:31], s[26:27], v[26:27]
	v_mul_f64 v[38:39], v[26:27], v[26:27]
	v_fma_f64 v[28:29], v[26:27], v[28:29], s[24:25]
	v_fma_f64 v[32:33], v[16:17], -v[18:19], v[32:33]
	v_fma_f64 v[30:31], v[26:27], v[30:31], s[28:29]
	v_fmac_f64_e32 v[32:33], v[38:39], v[28:29]
	v_fma_f64 v[30:31], v[26:27], v[30:31], s[30:31]
	v_add_f64 v[28:29], v[34:35], v[32:33]
	v_fma_f64 v[30:31], v[26:27], v[30:31], s[34:35]
	v_mul_f64 v[32:33], v[16:17], -v[26:27]
	v_mul_f64 v[34:35], v[18:19], 0.5
	v_fmac_f64_e32 v[34:35], v[32:33], v[30:31]
	v_fma_f64 v[18:19], v[26:27], v[34:35], -v[18:19]
	v_fmac_f64_e32 v[18:19], s[36:37], v[32:33]
	v_add_f64 v[16:17], v[16:17], -v[18:19]
	v_and_b32_e32 v18, 1, v15
	v_xor_b32_e32 v17, 0x80000000, v17
	v_cmp_eq_u32_e32 vcc, 0, v18
	v_cndmask_b32_e32 v26, v16, v28, vcc
	v_cndmask_b32_e32 v27, v17, v29, vcc
	v_mul_f64 v[16:17], v[20:21], v[24:25]
	v_div_scale_f64 v[18:19], s[16:17], v[48:49], v[48:49], v[16:17]
	v_rcp_f64_e32 v[20:21], v[18:19]
	v_lshlrev_b32_e32 v15, 30, v15
	v_and_b32_e32 v15, 0x80000000, v15
	v_xor_b32_e32 v15, v27, v15
	v_cndmask_b32_e64 v24, 0, v26, s[6:7]
	v_fma_f64 v[26:27], -v[18:19], v[20:21], 1.0
	v_fmac_f64_e32 v[20:21], v[20:21], v[26:27]
	v_fma_f64 v[26:27], -v[18:19], v[20:21], 1.0
	v_fmac_f64_e32 v[20:21], v[20:21], v[26:27]
	v_div_scale_f64 v[26:27], vcc, v[16:17], v[48:49], v[16:17]
	v_mul_f64 v[28:29], v[26:27], v[20:21]
	v_fma_f64 v[18:19], -v[18:19], v[28:29], v[26:27]
	v_cndmask_b32_e64 v25, v37, v15, s[6:7]
	s_nop 0
	v_div_fmas_f64 v[18:19], v[18:19], v[20:21], v[28:29]
	v_div_fixup_f64 v[16:17], v[18:19], v[48:49], v[16:17]
	v_mul_f64 v[16:17], v[16:17], v[24:25]
	v_fma_f64 v[12:13], v[22:23], v[12:13], -v[16:17]
	v_mul_f64 v[12:13], v[2:3], v[12:13]
.LBB0_105:
	s_or_b64 exec, exec, s[14:15]
.LBB0_106:
	s_or_b64 exec, exec, s[12:13]
.LBB0_107:
	s_or_b64 exec, exec, s[10:11]
	s_or_b64 exec, exec, s[8:9]
	s_and_saveexec_b64 s[6:7], s[4:5]
	s_xor_b64 s[4:5], exec, s[6:7]
	s_cbranch_execnz .LBB0_95
.LBB0_108:
	s_or_b64 exec, exec, s[4:5]
	v_cmp_lt_i32_e32 vcc, v5, v4
	s_and_saveexec_b64 s[4:5], vcc
	s_cbranch_execz .LBB0_96
.LBB0_109:
	v_add_u32_e32 v2, s38, v5
	v_mov_b32_e32 v3, 0
	v_lshlrev_b64 v[2:3], 3, v[2:3]
	v_add_co_u32_e32 v2, vcc, v0, v2
	v_addc_co_u32_e32 v3, vcc, v1, v3, vcc
	v_add_u32_e32 v5, 0x100, v5
	flat_store_dwordx2 v[2:3], v[8:9]
	s_or_b64 exec, exec, s[4:5]
	v_cmp_lt_i32_e32 vcc, v5, v4
	s_and_saveexec_b64 s[4:5], vcc
	s_cbranch_execnz .LBB0_97
.LBB0_110:
	s_or_b64 exec, exec, s[4:5]
	v_cmp_lt_i32_e32 vcc, v5, v4
	s_and_saveexec_b64 s[4:5], vcc
	s_cbranch_execz .LBB0_112
.LBB0_111:
	v_add_u32_e32 v2, s38, v5
	v_mov_b32_e32 v3, 0
	v_lshlrev_b64 v[2:3], 3, v[2:3]
	v_add_co_u32_e32 v0, vcc, v0, v2
	v_addc_co_u32_e32 v1, vcc, v1, v3, vcc
	flat_store_dwordx2 v[0:1], v[12:13]
.LBB0_112:
	s_or_b64 exec, exec, s[4:5]
	v_readlane_b32 s30, v40, 7
	v_readlane_b32 s31, v40, 8
	;; [unrolled: 1-line block ×9, first 2 shown]
	s_or_saveexec_b64 s[4:5], -1
	buffer_load_dword v40, off, s[0:3], s32 ; 4-byte Folded Reload
	s_mov_b64 exec, s[4:5]
	s_waitcnt vmcnt(0) lgkmcnt(0)
	s_setpc_b64 s[30:31]
.Lfunc_end0:
	.size	_ZN2at6native25elementwise_kernel_helperILb0EZZZNS0_12_GLOBAL__N_119airy_ai_kernel_cudaERNS_18TensorIteratorBaseEENKUlvE_clEvENKUlvE_clEvEUldE_NS0_6memory8policies11unroll_baseILi256ESt5arrayIPcLm2EE23TrivialOffsetCalculatorILi1EjESF_NS8_15LoadWithoutCastENS8_16StoreWithoutCastELi4ELi1EEEEEvT0_T1_, .Lfunc_end0-_ZN2at6native25elementwise_kernel_helperILb0EZZZNS0_12_GLOBAL__N_119airy_ai_kernel_cudaERNS_18TensorIteratorBaseEENKUlvE_clEvENKUlvE_clEvEUldE_NS0_6memory8policies11unroll_baseILi256ESt5arrayIPcLm2EE23TrivialOffsetCalculatorILi1EjESF_NS8_15LoadWithoutCastENS8_16StoreWithoutCastELi4ELi1EEEEEvT0_T1_
                                        ; -- End function
	.section	.AMDGPU.csdata,"",@progbits
; Function info:
; codeLenInByte = 24924
; NumSgprs: 46
; NumVgprs: 68
; NumAgprs: 0
; TotalNumVgprs: 68
; ScratchSize: 8
; MemoryBound: 0
	.text
	.p2align	2                               ; -- Begin function _ZN2at6native25elementwise_kernel_helperILb0EZZZNS0_12_GLOBAL__N_119airy_ai_kernel_cudaERNS_18TensorIteratorBaseEENKUlvE_clEvENKUlvE_clEvEUldE_NS0_6memory8policies10vectorizedILi4ESt5arrayIPcLm2EELi4EEEEEvT0_T1_
	.type	_ZN2at6native25elementwise_kernel_helperILb0EZZZNS0_12_GLOBAL__N_119airy_ai_kernel_cudaERNS_18TensorIteratorBaseEENKUlvE_clEvENKUlvE_clEvEUldE_NS0_6memory8policies10vectorizedILi4ESt5arrayIPcLm2EELi4EEEEEvT0_T1_,@function
_ZN2at6native25elementwise_kernel_helperILb0EZZZNS0_12_GLOBAL__N_119airy_ai_kernel_cudaERNS_18TensorIteratorBaseEENKUlvE_clEvENKUlvE_clEvEUldE_NS0_6memory8policies10vectorizedILi4ESt5arrayIPcLm2EELi4EEEEEvT0_T1_: ; @_ZN2at6native25elementwise_kernel_helperILb0EZZZNS0_12_GLOBAL__N_119airy_ai_kernel_cudaERNS_18TensorIteratorBaseEENKUlvE_clEvENKUlvE_clEvEUldE_NS0_6memory8policies10vectorizedILi4ESt5arrayIPcLm2EELi4EEEEEvT0_T1_
; %bb.0:
	s_waitcnt vmcnt(0) expcnt(0) lgkmcnt(0)
	s_or_saveexec_b64 s[4:5], -1
	buffer_store_dword v40, off, s[0:3], s32 ; 4-byte Folded Spill
	s_mov_b64 exec, s[4:5]
	v_writelane_b32 v40, s34, 0
	v_writelane_b32 v40, s35, 1
	;; [unrolled: 1-line block ×8, first 2 shown]
	s_lshl_b32 s4, s12, 10
	s_ashr_i32 s5, s4, 31
	s_lshl_b64 s[6:7], s[4:5], 3
	v_mov_b32_e32 v4, s7
	v_add_co_u32_e32 v2, vcc, s6, v2
	v_addc_co_u32_e32 v3, vcc, v3, v4, vcc
	v_and_b32_e32 v4, 0x3ff, v31
	v_lshlrev_b32_e32 v30, 5, v4
	v_add_co_u32_e32 v2, vcc, v2, v30
	v_addc_co_u32_e32 v3, vcc, 0, v3, vcc
	flat_load_dwordx4 v[10:13], v[2:3]
	flat_load_dwordx4 v[6:9], v[2:3] offset:16
	s_mov_b32 s8, 0
	v_mov_b32_e32 v4, 0
	s_mov_b32 s9, 0x7ff00000
	v_mov_b32_e32 v5, 0x7ff80000
	v_pk_mov_b32 v[2:3], v[4:5], v[4:5] op_sel:[0,1]
	s_waitcnt vmcnt(0) lgkmcnt(0)
	v_cmp_neq_f64_e64 s[4:5], |v[10:11]|, s[8:9]
	s_and_saveexec_b64 s[10:11], s[4:5]
	s_cbranch_execz .LBB1_22
; %bb.1:
	s_mov_b32 s4, 0x872b020c
	s_mov_b32 s5, 0x4059f916
	v_cmp_nlt_f64_e32 vcc, s[4:5], v[10:11]
	v_pk_mov_b32 v[2:3], 0, 0
	s_and_saveexec_b64 s[12:13], vcc
	s_cbranch_execz .LBB1_21
; %bb.2:
	s_mov_b32 s5, 0xc000b851
	s_mov_b32 s4, 0xeb851eb8
	v_cmp_ngt_f64_e32 vcc, s[4:5], v[10:11]
	s_and_saveexec_b64 s[14:15], vcc
	s_xor_b64 s[14:15], exec, s[14:15]
	s_cbranch_execz .LBB1_10
; %bb.3:
	s_mov_b32 s5, 0x4000b851
	v_cmp_nle_f64_e64 s[16:17], s[4:5], v[10:11]
	v_cmp_le_f64_e32 vcc, s[4:5], v[10:11]
	v_pk_mov_b32 v[2:3], 0, 0
	s_mov_b64 s[4:5], s[16:17]
	s_and_saveexec_b64 s[18:19], vcc
	s_cbranch_execz .LBB1_5
; %bb.4:
	s_mov_b32 s4, 0
	s_brev_b32 s5, 8
	v_cmp_gt_f64_e32 vcc, s[4:5], v[10:11]
	v_cndmask_b32_e64 v2, 0, 1, vcc
	v_lshlrev_b32_e32 v2, 8, v2
	v_ldexp_f64 v[2:3], v[10:11], v2
	v_rsq_f64_e32 v[14:15], v[2:3]
	v_mov_b32_e32 v28, 0xffffff80
	v_mov_b32_e32 v29, 0x260
	v_add_f64 v[16:17], v[10:11], v[10:11]
	v_mul_f64 v[18:19], v[2:3], v[14:15]
	v_mul_f64 v[14:15], v[14:15], 0.5
	v_fma_f64 v[20:21], -v[14:15], v[18:19], 0.5
	v_fmac_f64_e32 v[18:19], v[18:19], v[20:21]
	v_fma_f64 v[22:23], -v[18:19], v[18:19], v[2:3]
	v_fmac_f64_e32 v[14:15], v[14:15], v[20:21]
	v_fmac_f64_e32 v[18:19], v[22:23], v[14:15]
	v_fma_f64 v[20:21], -v[18:19], v[18:19], v[2:3]
	v_fmac_f64_e32 v[18:19], v[20:21], v[14:15]
	v_cndmask_b32_e32 v14, 0, v28, vcc
	v_ldexp_f64 v[14:15], v[18:19], v14
	v_cmp_class_f64_e32 vcc, v[2:3], v29
	v_cndmask_b32_e32 v3, v15, v3, vcc
	v_cndmask_b32_e32 v2, v14, v2, vcc
	s_mov_b32 s20, 0
	v_mul_f64 v[14:15], v[16:17], v[2:3]
	s_mov_b32 s21, 0x40080000
	v_div_scale_f64 v[16:17], s[22:23], s[20:21], s[20:21], v[14:15]
	v_rcp_f64_e32 v[18:19], v[16:17]
	v_fma_f64 v[20:21], -v[16:17], v[18:19], 1.0
	v_fmac_f64_e32 v[18:19], v[18:19], v[20:21]
	v_fma_f64 v[20:21], -v[16:17], v[18:19], 1.0
	v_fmac_f64_e32 v[18:19], v[18:19], v[20:21]
	v_div_scale_f64 v[20:21], vcc, v[14:15], s[20:21], v[14:15]
	v_mul_f64 v[22:23], v[20:21], v[18:19]
	v_fma_f64 v[16:17], -v[16:17], v[22:23], v[20:21]
	s_nop 1
	v_div_fmas_f64 v[16:17], v[16:17], v[18:19], v[22:23]
	v_div_fixup_f64 v[14:15], v[16:17], s[20:21], v[14:15]
	v_div_scale_f64 v[16:17], s[20:21], v[14:15], v[14:15], 1.0
	v_rcp_f64_e32 v[18:19], v[16:17]
	v_fma_f64 v[20:21], -v[16:17], v[18:19], 1.0
	v_fmac_f64_e32 v[18:19], v[18:19], v[20:21]
	v_fma_f64 v[20:21], -v[16:17], v[18:19], 1.0
	v_fmac_f64_e32 v[18:19], v[18:19], v[20:21]
	v_div_scale_f64 v[20:21], vcc, 1.0, v[14:15], 1.0
	v_mul_f64 v[22:23], v[20:21], v[18:19]
	v_fma_f64 v[16:17], -v[16:17], v[22:23], v[20:21]
	v_mov_b32_e32 v20, 0x871a9067
	s_nop 0
	v_div_fmas_f64 v[16:17], v[16:17], v[18:19], v[22:23]
	v_div_fixup_f64 v[16:17], v[16:17], v[14:15], 1.0
	v_mov_b32_e32 v18, 0x2537b658
	v_mov_b32_e32 v19, 0x3fd62dae
	v_fmac_f64_e32 v[18:19], 0, v[16:17]
	v_mov_b32_e32 v21, 0x402803e3
	v_fmac_f64_e32 v[20:21], v[16:17], v[18:19]
	v_mov_b32_e32 v18, 0xde2e1e3
	v_mov_b32_e32 v19, 0x405311e5
	v_fmac_f64_e32 v[18:19], v[16:17], v[20:21]
	v_mov_b32_e32 v20, 0xee40073c
	v_mov_b32_e32 v21, 0x406502da
	v_fmac_f64_e32 v[20:21], v[16:17], v[18:19]
	v_mov_b32_e32 v18, 0x5ba1fddf
	v_mov_b32_e32 v19, 0x4063f834
	v_fmac_f64_e32 v[18:19], v[16:17], v[20:21]
	v_mov_b32_e32 v20, 0x4f4cea4f
	v_mov_b32_e32 v21, 0x4051a24f
	v_fmac_f64_e32 v[20:21], v[16:17], v[18:19]
	v_mov_b32_e32 v18, 0x5c2a0f4d
	v_mov_b32_e32 v19, 0x402c0d8d
	v_fmac_f64_e32 v[18:19], v[16:17], v[20:21]
	v_mov_b32_e32 v20, 0x2624d31
	v_mov_b32_e32 v21, 0x3fe229bc
	v_fmac_f64_e32 v[20:21], 0, v[16:17]
	v_mov_b32_e32 v22, 0x5332ca5
	v_mov_b32_e32 v23, 0x402d8334
	v_fmac_f64_e32 v[22:23], v[16:17], v[20:21]
	v_mov_b32_e32 v20, 0xb04d51a0
	v_mov_b32_e32 v21, 0x405520e3
	v_fmac_f64_e32 v[20:21], v[16:17], v[22:23]
	v_mov_b32_e32 v22, 0xc730b7b0
	v_mov_b32_e32 v23, 0x40662a2d
	v_fmac_f64_e32 v[22:23], v[16:17], v[20:21]
	v_mov_b32_e32 v20, 0x9a9ffa61
	v_mov_b32_e32 v21, 0x40648782
	v_fmac_f64_e32 v[20:21], v[16:17], v[22:23]
	v_mov_b32_e32 v22, 0xee91d35f
	v_mov_b32_e32 v23, 0x4051de94
	v_fmac_f64_e32 v[22:23], v[16:17], v[20:21]
	v_mov_b32_e32 v20, 0x950d9d81
	v_mov_b32_e32 v21, 0x402c311b
	v_fmac_f64_e32 v[20:21], v[16:17], v[22:23]
	v_fma_f64 v[20:21], v[16:17], v[20:21], 1.0
	v_fma_f64 v[16:17], v[16:17], v[18:19], 1.0
	v_div_scale_f64 v[18:19], s[20:21], v[20:21], v[20:21], v[16:17]
	v_rcp_f64_e32 v[22:23], v[18:19]
	v_fma_f64 v[24:25], -v[18:19], v[22:23], 1.0
	v_fmac_f64_e32 v[22:23], v[22:23], v[24:25]
	v_fma_f64 v[24:25], -v[18:19], v[22:23], 1.0
	v_fmac_f64_e32 v[22:23], v[22:23], v[24:25]
	v_div_scale_f64 v[24:25], vcc, v[16:17], v[20:21], v[16:17]
	v_mul_f64 v[26:27], v[24:25], v[22:23]
	v_fma_f64 v[18:19], -v[18:19], v[26:27], v[24:25]
	s_nop 1
	v_div_fmas_f64 v[18:19], v[18:19], v[22:23], v[26:27]
	v_cmp_gt_f64_e32 vcc, s[4:5], v[2:3]
	v_div_fixup_f64 v[16:17], v[18:19], v[20:21], v[16:17]
	v_cndmask_b32_e64 v18, 0, 1, vcc
	v_lshlrev_b32_e32 v18, 8, v18
	v_ldexp_f64 v[2:3], v[2:3], v18
	v_rsq_f64_e32 v[18:19], v[2:3]
	s_mov_b32 s4, 0x50429b6d
	s_mov_b32 s5, 0x3fe20dd7
	v_mul_f64 v[16:17], v[16:17], s[4:5]
	v_mul_f64 v[20:21], v[2:3], v[18:19]
	v_mul_f64 v[18:19], v[18:19], 0.5
	v_fma_f64 v[22:23], -v[18:19], v[20:21], 0.5
	v_fmac_f64_e32 v[20:21], v[20:21], v[22:23]
	v_fma_f64 v[24:25], -v[20:21], v[20:21], v[2:3]
	v_fmac_f64_e32 v[18:19], v[18:19], v[22:23]
	v_fmac_f64_e32 v[20:21], v[24:25], v[18:19]
	v_fma_f64 v[22:23], -v[20:21], v[20:21], v[2:3]
	v_fmac_f64_e32 v[20:21], v[22:23], v[18:19]
	v_cndmask_b32_e32 v18, 0, v28, vcc
	s_mov_b32 s4, 0x652b82fe
	v_ldexp_f64 v[18:19], v[20:21], v18
	v_cmp_class_f64_e32 vcc, v[2:3], v29
	s_mov_b32 s5, 0x3ff71547
	v_cndmask_b32_e32 v3, v19, v3, vcc
	v_cndmask_b32_e32 v2, v18, v2, vcc
	v_mul_f64 v[18:19], v[14:15], s[4:5]
	s_mov_b32 s4, 0xfefa39ef
	v_rndne_f64_e32 v[18:19], v[18:19]
	s_mov_b32 s5, 0xbfe62e42
	v_fma_f64 v[20:21], s[4:5], v[18:19], v[14:15]
	s_mov_b32 s4, 0x3b39803f
	s_mov_b32 s5, 0xbc7abc9e
	v_fmac_f64_e32 v[20:21], s[4:5], v[18:19]
	s_mov_b32 s4, 0x6a5dcb37
	v_mov_b32_e32 v22, 0xfca7ab0c
	v_mov_b32_e32 v23, 0x3e928af3
	s_mov_b32 s5, 0x3e5ade15
	v_fmac_f64_e32 v[22:23], s[4:5], v[20:21]
	v_mov_b32_e32 v24, 0x623fde64
	v_mov_b32_e32 v25, 0x3ec71dee
	v_fmac_f64_e32 v[24:25], v[20:21], v[22:23]
	v_mov_b32_e32 v22, 0x7c89e6b0
	v_mov_b32_e32 v23, 0x3efa0199
	;; [unrolled: 3-line block ×8, first 2 shown]
	s_mov_b32 s4, 0
	v_fmac_f64_e32 v[22:23], v[20:21], v[24:25]
	s_mov_b32 s5, 0x40900000
	v_fma_f64 v[22:23], v[20:21], v[22:23], 1.0
	v_cmp_nlt_f64_e32 vcc, s[4:5], v[14:15]
	s_mov_b32 s4, 0
	v_fma_f64 v[20:21], v[20:21], v[22:23], 1.0
	v_cvt_i32_f64_e32 v18, v[18:19]
	s_mov_b32 s5, 0xc090cc00
	v_ldexp_f64 v[18:19], v[20:21], v18
	v_mov_b32_e32 v20, 0x7ff00000
	v_cmp_ngt_f64_e64 s[4:5], s[4:5], v[14:15]
	v_cndmask_b32_e32 v19, v20, v19, vcc
	s_and_b64 vcc, s[4:5], vcc
	v_add_f64 v[2:3], v[2:3], v[2:3]
	v_cndmask_b32_e64 v15, 0, v19, s[4:5]
	v_cndmask_b32_e32 v14, 0, v18, vcc
	v_mul_f64 v[2:3], v[2:3], v[14:15]
	v_div_scale_f64 v[14:15], s[4:5], v[2:3], v[2:3], v[16:17]
	v_rcp_f64_e32 v[18:19], v[14:15]
	s_mov_b32 s4, 0xfd0a823a
	s_mov_b32 s5, 0x4020a402
	v_fma_f64 v[20:21], -v[14:15], v[18:19], 1.0
	v_fmac_f64_e32 v[18:19], v[18:19], v[20:21]
	v_fma_f64 v[20:21], -v[14:15], v[18:19], 1.0
	v_fmac_f64_e32 v[18:19], v[18:19], v[20:21]
	v_div_scale_f64 v[20:21], vcc, v[16:17], v[2:3], v[16:17]
	v_mul_f64 v[22:23], v[20:21], v[18:19]
	v_fma_f64 v[14:15], -v[14:15], v[22:23], v[20:21]
	s_nop 1
	v_div_fmas_f64 v[14:15], v[14:15], v[18:19], v[22:23]
	v_cmp_nlt_f64_e32 vcc, s[4:5], v[10:11]
	s_andn2_b64 s[4:5], s[16:17], exec
	s_and_b64 s[20:21], vcc, exec
	v_div_fixup_f64 v[2:3], v[14:15], v[2:3], v[16:17]
	s_or_b64 s[4:5], s[4:5], s[20:21]
.LBB1_5:
	s_or_b64 exec, exec, s[18:19]
	s_and_saveexec_b64 s[18:19], s[4:5]
	s_cbranch_execz .LBB1_9
; %bb.6:
	v_mov_b32_e32 v22, 0
	v_mul_f64 v[14:15], v[10:11], v[10:11]
	v_mov_b32_e32 v23, 0x3ff00000
	s_mov_b32 s22, 0
	v_mul_f64 v[16:17], v[10:11], v[14:15]
	s_mov_b64 s[20:21], 0
	s_mov_b32 s23, 0x3cb00000
	v_pk_mov_b32 v[20:21], v[22:23], v[22:23] op_sel:[0,1]
	v_pk_mov_b32 v[18:19], v[10:11], v[10:11] op_sel:[0,1]
	;; [unrolled: 1-line block ×3, first 2 shown]
.LBB1_7:                                ; =>This Inner Loop Header: Depth=1
	v_mul_f64 v[22:23], v[16:17], v[22:23]
	v_add_f64 v[24:25], v[20:21], 1.0
	v_mul_f64 v[10:11], v[16:17], v[10:11]
	v_div_scale_f64 v[26:27], s[4:5], v[24:25], v[24:25], v[22:23]
	v_add_f64 v[32:33], v[24:25], 1.0
	v_rcp_f64_e32 v[34:35], v[26:27]
	v_div_scale_f64 v[36:37], s[4:5], v[32:33], v[32:33], v[10:11]
	v_rcp_f64_e32 v[48:49], v[36:37]
	v_fma_f64 v[50:51], -v[26:27], v[34:35], 1.0
	v_fmac_f64_e32 v[34:35], v[34:35], v[50:51]
	v_fma_f64 v[52:53], -v[26:27], v[34:35], 1.0
	v_fma_f64 v[50:51], -v[36:37], v[48:49], 1.0
	v_fmac_f64_e32 v[48:49], v[48:49], v[50:51]
	v_div_scale_f64 v[28:29], vcc, v[22:23], v[24:25], v[22:23]
	v_fmac_f64_e32 v[34:35], v[34:35], v[52:53]
	v_fma_f64 v[50:51], -v[36:37], v[48:49], 1.0
	v_div_scale_f64 v[38:39], s[4:5], v[10:11], v[32:33], v[10:11]
	v_mul_f64 v[52:53], v[28:29], v[34:35]
	v_fmac_f64_e32 v[48:49], v[48:49], v[50:51]
	v_fma_f64 v[26:27], -v[26:27], v[52:53], v[28:29]
	v_mul_f64 v[28:29], v[38:39], v[48:49]
	v_div_fmas_f64 v[26:27], v[26:27], v[34:35], v[52:53]
	v_fma_f64 v[34:35], -v[36:37], v[28:29], v[38:39]
	s_mov_b64 vcc, s[4:5]
	v_div_fixup_f64 v[22:23], v[26:27], v[24:25], v[22:23]
	v_div_fmas_f64 v[24:25], v[34:35], v[48:49], v[28:29]
	v_div_fixup_f64 v[10:11], v[24:25], v[32:33], v[10:11]
	v_div_scale_f64 v[24:25], s[4:5], v[32:33], v[32:33], v[22:23]
	v_add_f64 v[20:21], v[32:33], 1.0
	v_rcp_f64_e32 v[28:29], v[24:25]
	v_div_scale_f64 v[34:35], s[4:5], v[20:21], v[20:21], v[10:11]
	v_rcp_f64_e32 v[38:39], v[34:35]
	v_fma_f64 v[48:49], -v[24:25], v[28:29], 1.0
	v_fmac_f64_e32 v[28:29], v[28:29], v[48:49]
	v_fma_f64 v[50:51], -v[24:25], v[28:29], 1.0
	v_fma_f64 v[48:49], -v[34:35], v[38:39], 1.0
	v_div_scale_f64 v[26:27], vcc, v[22:23], v[32:33], v[22:23]
	v_fmac_f64_e32 v[38:39], v[38:39], v[48:49]
	v_fmac_f64_e32 v[28:29], v[28:29], v[50:51]
	v_fma_f64 v[48:49], -v[34:35], v[38:39], 1.0
	v_mul_f64 v[50:51], v[26:27], v[28:29]
	v_div_scale_f64 v[36:37], s[4:5], v[10:11], v[20:21], v[10:11]
	v_fmac_f64_e32 v[38:39], v[38:39], v[48:49]
	v_fma_f64 v[24:25], -v[24:25], v[50:51], v[26:27]
	v_mul_f64 v[26:27], v[36:37], v[38:39]
	v_div_fmas_f64 v[24:25], v[24:25], v[28:29], v[50:51]
	v_fma_f64 v[28:29], -v[34:35], v[26:27], v[36:37]
	v_div_fixup_f64 v[22:23], v[24:25], v[32:33], v[22:23]
	s_mov_b64 vcc, s[4:5]
	v_div_fmas_f64 v[24:25], v[28:29], v[38:39], v[26:27]
	v_add_f64 v[14:15], v[14:15], v[22:23]
	v_div_fixup_f64 v[10:11], v[24:25], v[20:21], v[10:11]
	v_div_scale_f64 v[24:25], s[4:5], v[14:15], v[14:15], v[22:23]
	v_rcp_f64_e32 v[26:27], v[24:25]
	v_div_scale_f64 v[28:29], vcc, v[22:23], v[14:15], v[22:23]
	v_add_f64 v[18:19], v[18:19], v[10:11]
	v_fma_f64 v[32:33], -v[24:25], v[26:27], 1.0
	v_fmac_f64_e32 v[26:27], v[26:27], v[32:33]
	v_fma_f64 v[32:33], -v[24:25], v[26:27], 1.0
	v_fmac_f64_e32 v[26:27], v[26:27], v[32:33]
	v_mul_f64 v[32:33], v[28:29], v[26:27]
	v_fma_f64 v[24:25], -v[24:25], v[32:33], v[28:29]
	v_div_fmas_f64 v[24:25], v[24:25], v[26:27], v[32:33]
	v_div_fixup_f64 v[24:25], v[24:25], v[14:15], v[22:23]
	v_cmp_ngt_f64_e64 s[4:5], |v[24:25]|, s[22:23]
	s_or_b64 s[20:21], s[4:5], s[20:21]
	s_andn2_b64 exec, exec, s[20:21]
	s_cbranch_execnz .LBB1_7
; %bb.8:
	s_or_b64 exec, exec, s[20:21]
	s_mov_b32 s4, 0x42b70f8b
	s_mov_b32 s5, 0xbfd0907f
	v_mul_f64 v[16:17], v[18:19], s[4:5]
	s_mov_b32 s4, 0x962715b8
	s_mov_b32 s5, 0x3fd6b8c7
	v_fmac_f64_e32 v[16:17], s[4:5], v[14:15]
	v_cndmask_b32_e64 v3, v3, v17, s[16:17]
	v_cndmask_b32_e64 v2, v2, v16, s[16:17]
.LBB1_9:
	s_or_b64 exec, exec, s[18:19]
.LBB1_10:
	s_andn2_saveexec_b64 s[14:15], s[14:15]
	s_cbranch_execz .LBB1_20
; %bb.11:
	s_mov_b32 s4, 0
	s_brev_b32 s5, 9
	v_cmp_lt_f64_e32 vcc, s[4:5], v[10:11]
	v_cndmask_b32_e64 v2, 0, 1, vcc
	v_lshlrev_b32_e32 v2, 8, v2
	v_ldexp_f64 v[2:3], -v[10:11], v2
	v_rsq_f64_e32 v[14:15], v[2:3]
	v_mul_f64 v[10:11], v[10:11], -2.0
	s_mov_b32 s16, 0
	s_mov_b32 s17, 0x40080000
	v_mul_f64 v[16:17], v[2:3], v[14:15]
	v_mul_f64 v[14:15], v[14:15], 0.5
	v_fma_f64 v[18:19], -v[14:15], v[16:17], 0.5
	v_fmac_f64_e32 v[16:17], v[16:17], v[18:19]
	v_fma_f64 v[20:21], -v[16:17], v[16:17], v[2:3]
	v_fmac_f64_e32 v[14:15], v[14:15], v[18:19]
	v_fmac_f64_e32 v[16:17], v[20:21], v[14:15]
	v_fma_f64 v[18:19], -v[16:17], v[16:17], v[2:3]
	v_fmac_f64_e32 v[16:17], v[18:19], v[14:15]
	v_mov_b32_e32 v14, 0xffffff80
	v_cndmask_b32_e32 v14, 0, v14, vcc
	v_ldexp_f64 v[14:15], v[16:17], v14
	v_mov_b32_e32 v16, 0x260
	v_cmp_class_f64_e32 vcc, v[2:3], v16
	v_cndmask_b32_e32 v3, v15, v3, vcc
	v_cndmask_b32_e32 v2, v14, v2, vcc
	v_mul_f64 v[10:11], v[10:11], v[2:3]
	v_div_scale_f64 v[14:15], s[4:5], s[16:17], s[16:17], v[10:11]
	v_rcp_f64_e32 v[16:17], v[14:15]
	s_mov_b32 s19, 0x3fe921fb
	s_mov_b32 s18, 0x54442d18
	s_movk_i32 s4, 0xff80
	v_fma_f64 v[18:19], -v[14:15], v[16:17], 1.0
	v_fmac_f64_e32 v[16:17], v[16:17], v[18:19]
	v_fma_f64 v[18:19], -v[14:15], v[16:17], 1.0
	v_fmac_f64_e32 v[16:17], v[16:17], v[18:19]
	v_div_scale_f64 v[18:19], vcc, v[10:11], s[16:17], v[10:11]
	v_mul_f64 v[20:21], v[18:19], v[16:17]
	v_fma_f64 v[14:15], -v[14:15], v[20:21], v[18:19]
                                        ; implicit-def: $vgpr32
                                        ; implicit-def: $vgpr22_vgpr23
	s_nop 1
	v_div_fmas_f64 v[14:15], v[14:15], v[16:17], v[20:21]
	v_div_fixup_f64 v[18:19], v[14:15], s[16:17], v[10:11]
	s_mov_b32 s16, 0
	v_add_f64 v[10:11], v[18:19], s[18:19]
	s_mov_b32 s17, 0x41d00000
	v_cmp_nlt_f64_e64 s[16:17], |v[10:11]|, s[16:17]
	v_trig_preop_f64 v[28:29], |v[10:11]|, 0
	v_trig_preop_f64 v[26:27], |v[10:11]|, 1
	;; [unrolled: 1-line block ×3, first 2 shown]
                                        ; implicit-def: $vgpr20_vgpr21
	s_and_saveexec_b64 s[20:21], s[16:17]
	s_xor_b64 s[20:21], exec, s[20:21]
	s_cbranch_execz .LBB1_13
; %bb.12:
	s_mov_b32 s22, 0
	s_mov_b32 s23, 0x7b000000
	v_and_b32_e32 v16, 0x7fffffff, v11
	v_ldexp_f64 v[14:15], |v[10:11]|, s4
	v_cmp_ge_f64_e64 vcc, |v[10:11]|, s[22:23]
	v_cndmask_b32_e32 v15, v16, v15, vcc
	v_cndmask_b32_e32 v14, v10, v14, vcc
	v_mul_f64 v[20:21], v[28:29], v[14:15]
	v_mul_f64 v[16:17], v[26:27], v[14:15]
	v_fma_f64 v[22:23], v[28:29], v[14:15], -v[20:21]
	v_add_f64 v[32:33], v[16:17], v[22:23]
	v_add_f64 v[34:35], v[20:21], v[32:33]
	s_mov_b32 s4, 0
	v_ldexp_f64 v[36:37], v[34:35], -2
	s_mov_b32 s5, 0x7ff00000
	v_fract_f64_e32 v[38:39], v[36:37]
	v_cmp_neq_f64_e64 vcc, |v[36:37]|, s[4:5]
	v_cndmask_b32_e32 v37, 0, v39, vcc
	v_cndmask_b32_e32 v36, 0, v38, vcc
	v_add_f64 v[38:39], v[32:33], -v[16:17]
	v_add_f64 v[22:23], v[22:23], -v[38:39]
	;; [unrolled: 1-line block ×4, first 2 shown]
	v_add_f64 v[22:23], v[22:23], v[38:39]
	v_fma_f64 v[16:17], v[26:27], v[14:15], -v[16:17]
	v_mul_f64 v[38:39], v[24:25], v[14:15]
	v_add_f64 v[50:51], v[38:39], v[16:17]
	v_add_f64 v[52:53], v[50:51], v[22:23]
	v_add_f64 v[20:21], v[34:35], -v[20:21]
	v_add_f64 v[34:35], v[52:53], -v[50:51]
	;; [unrolled: 1-line block ×5, first 2 shown]
	v_add_f64 v[22:23], v[22:23], v[34:35]
	v_add_f64 v[34:35], v[50:51], -v[38:39]
	v_add_f64 v[16:17], v[16:17], -v[34:35]
	;; [unrolled: 1-line block ×5, first 2 shown]
	v_add_f64 v[32:33], v[20:21], v[52:53]
	v_add_f64 v[16:17], v[16:17], v[34:35]
	v_add_f64 v[20:21], v[32:33], -v[20:21]
	v_add_f64 v[16:17], v[16:17], v[22:23]
	v_fma_f64 v[14:15], v[24:25], v[14:15], -v[38:39]
	v_add_f64 v[20:21], v[52:53], -v[20:21]
	v_add_f64 v[14:15], v[14:15], v[16:17]
	v_ldexp_f64 v[16:17], v[36:37], 2
	v_add_f64 v[14:15], v[20:21], v[14:15]
	v_add_f64 v[20:21], v[32:33], v[16:17]
	v_mov_b32_e32 v22, 0x40100000
	v_cmp_gt_f64_e32 vcc, 0, v[20:21]
	v_mov_b32_e32 v48, 0
	v_cndmask_b32_e32 v49, 0, v22, vcc
	v_add_f64 v[16:17], v[16:17], v[48:49]
	v_add_f64 v[20:21], v[32:33], v[16:17]
	v_cvt_i32_f64_e32 v22, v[20:21]
	v_cvt_f64_i32_e32 v[20:21], v22
	v_add_f64 v[16:17], v[16:17], -v[20:21]
	v_add_f64 v[20:21], v[32:33], v[16:17]
	v_add_f64 v[16:17], v[20:21], -v[16:17]
	v_add_f64 v[16:17], v[32:33], -v[16:17]
	v_add_f64 v[14:15], v[14:15], v[16:17]
	v_cmp_le_f64_e32 vcc, 0.5, v[20:21]
	v_mov_b32_e32 v16, 0x3ff00000
	v_cndmask_b32_e32 v49, 0, v16, vcc
	v_add_f64 v[16:17], v[20:21], -v[48:49]
	v_add_f64 v[20:21], v[16:17], v[14:15]
	v_addc_co_u32_e64 v32, s[4:5], 0, v22, vcc
	v_add_f64 v[16:17], v[20:21], -v[16:17]
	s_mov_b32 s19, 0x3ff921fb
	v_add_f64 v[14:15], v[14:15], -v[16:17]
	v_mul_f64 v[16:17], v[20:21], s[18:19]
	s_mov_b32 s4, 0x33145c07
	v_fma_f64 v[22:23], v[20:21], s[18:19], -v[16:17]
	s_mov_b32 s5, 0x3c91a626
	v_fmac_f64_e32 v[22:23], s[4:5], v[20:21]
	v_fmac_f64_e32 v[22:23], s[18:19], v[14:15]
	v_add_f64 v[20:21], v[16:17], v[22:23]
	v_add_f64 v[14:15], v[20:21], -v[16:17]
	v_add_f64 v[22:23], v[22:23], -v[14:15]
	s_andn2_saveexec_b64 s[4:5], s[20:21]
	s_cbranch_execz .LBB1_15
	s_branch .LBB1_14
.LBB1_13:
	s_andn2_saveexec_b64 s[4:5], s[20:21]
	s_cbranch_execz .LBB1_15
.LBB1_14:
	s_mov_b32 s18, 0x6dc9c883
	s_mov_b32 s19, 0x3fe45f30
	v_mul_f64 v[14:15], |v[10:11]|, s[18:19]
	s_mov_b32 s18, 0x54442d18
	v_rndne_f64_e32 v[14:15], v[14:15]
	s_mov_b32 s19, 0xbff921fb
	v_fma_f64 v[16:17], v[14:15], s[18:19], |v[10:11]|
	s_mov_b32 s19, 0xbc91a626
	s_mov_b32 s18, 0x33145c00
	v_mul_f64 v[20:21], v[14:15], s[18:19]
	v_add_f64 v[34:35], v[16:17], v[20:21]
	v_fma_f64 v[22:23], s[18:19], v[14:15], v[16:17]
	s_mov_b32 s19, 0x3c91a626
	v_add_f64 v[16:17], v[16:17], -v[34:35]
	v_fma_f64 v[32:33], s[18:19], v[14:15], v[20:21]
	v_add_f64 v[16:17], v[16:17], v[20:21]
	v_add_f64 v[20:21], v[34:35], -v[22:23]
	v_add_f64 v[16:17], v[20:21], v[16:17]
	s_mov_b32 s18, 0x252049c0
	v_add_f64 v[16:17], v[16:17], -v[32:33]
	s_mov_b32 s19, 0xb97b839a
	v_fmac_f64_e32 v[16:17], s[18:19], v[14:15]
	v_add_f64 v[20:21], v[22:23], v[16:17]
	v_add_f64 v[22:23], v[20:21], -v[22:23]
	v_add_f64 v[22:23], v[16:17], -v[22:23]
	v_cvt_i32_f64_e32 v32, v[14:15]
.LBB1_15:
	s_or_b64 exec, exec, s[4:5]
                                        ; implicit-def: $vgpr31
                                        ; implicit-def: $vgpr14_vgpr15
                                        ; implicit-def: $vgpr16_vgpr17
	s_and_saveexec_b64 s[4:5], s[16:17]
	s_xor_b64 s[16:17], exec, s[4:5]
	s_cbranch_execz .LBB1_17
; %bb.16:
	s_mov_b32 s4, 0
	s_mov_b32 s5, 0x7b000000
	s_movk_i32 s18, 0xff80
	v_and_b32_e32 v16, 0x7fffffff, v11
	v_ldexp_f64 v[14:15], |v[10:11]|, s18
	v_cmp_ge_f64_e64 vcc, |v[10:11]|, s[4:5]
	v_cndmask_b32_e32 v15, v16, v15, vcc
	v_cndmask_b32_e32 v14, v10, v14, vcc
	v_mul_f64 v[34:35], v[28:29], v[14:15]
	v_mul_f64 v[16:17], v[26:27], v[14:15]
	v_fma_f64 v[28:29], v[28:29], v[14:15], -v[34:35]
	v_add_f64 v[36:37], v[16:17], v[28:29]
	v_add_f64 v[38:39], v[34:35], v[36:37]
	s_mov_b32 s4, 0
	v_ldexp_f64 v[48:49], v[38:39], -2
	s_mov_b32 s5, 0x7ff00000
	v_fract_f64_e32 v[50:51], v[48:49]
	v_cmp_neq_f64_e64 vcc, |v[48:49]|, s[4:5]
	v_cndmask_b32_e32 v49, 0, v51, vcc
	v_cndmask_b32_e32 v48, 0, v50, vcc
	v_add_f64 v[50:51], v[36:37], -v[16:17]
	v_add_f64 v[28:29], v[28:29], -v[50:51]
	v_add_f64 v[50:51], v[36:37], -v[50:51]
	v_add_f64 v[50:51], v[16:17], -v[50:51]
	v_fma_f64 v[16:17], v[26:27], v[14:15], -v[16:17]
	v_mul_f64 v[26:27], v[24:25], v[14:15]
	v_add_f64 v[28:29], v[28:29], v[50:51]
	v_add_f64 v[50:51], v[26:27], v[16:17]
	;; [unrolled: 1-line block ×3, first 2 shown]
	v_add_f64 v[34:35], v[38:39], -v[34:35]
	v_add_f64 v[38:39], v[54:55], -v[50:51]
	;; [unrolled: 1-line block ×5, first 2 shown]
	v_add_f64 v[28:29], v[28:29], v[38:39]
	v_add_f64 v[38:39], v[50:51], -v[26:27]
	v_add_f64 v[16:17], v[16:17], -v[38:39]
	;; [unrolled: 1-line block ×4, first 2 shown]
	v_add_f64 v[16:17], v[16:17], v[38:39]
	v_add_f64 v[34:35], v[36:37], -v[34:35]
	v_add_f64 v[16:17], v[16:17], v[28:29]
	v_fma_f64 v[14:15], v[24:25], v[14:15], -v[26:27]
	v_add_f64 v[36:37], v[34:35], v[54:55]
	v_add_f64 v[14:15], v[14:15], v[16:17]
	v_ldexp_f64 v[16:17], v[48:49], 2
	v_add_f64 v[24:25], v[36:37], v[16:17]
	v_mov_b32_e32 v26, 0x40100000
	v_cmp_gt_f64_e32 vcc, 0, v[24:25]
	v_mov_b32_e32 v52, 0
	v_cndmask_b32_e32 v53, 0, v26, vcc
	v_add_f64 v[16:17], v[16:17], v[52:53]
	v_add_f64 v[24:25], v[36:37], v[16:17]
	v_cvt_i32_f64_e32 v26, v[24:25]
	v_cvt_f64_i32_e32 v[24:25], v26
	v_add_f64 v[16:17], v[16:17], -v[24:25]
	v_add_f64 v[34:35], v[36:37], -v[34:35]
	v_add_f64 v[24:25], v[36:37], v[16:17]
	v_add_f64 v[34:35], v[54:55], -v[34:35]
	v_add_f64 v[16:17], v[24:25], -v[16:17]
	v_add_f64 v[14:15], v[34:35], v[14:15]
	v_add_f64 v[16:17], v[36:37], -v[16:17]
	v_add_f64 v[14:15], v[14:15], v[16:17]
	v_cmp_le_f64_e32 vcc, 0.5, v[24:25]
	v_mov_b32_e32 v16, 0x3ff00000
	v_cndmask_b32_e32 v53, 0, v16, vcc
	v_addc_co_u32_e64 v31, s[4:5], 0, v26, vcc
	v_add_f64 v[16:17], v[24:25], -v[52:53]
	v_add_f64 v[24:25], v[16:17], v[14:15]
	s_mov_b32 s4, 0x54442d18
	v_add_f64 v[16:17], v[24:25], -v[16:17]
	s_mov_b32 s5, 0x3ff921fb
	v_add_f64 v[14:15], v[14:15], -v[16:17]
	v_mul_f64 v[16:17], v[24:25], s[4:5]
	s_mov_b32 s18, 0x33145c07
	v_fma_f64 v[26:27], v[24:25], s[4:5], -v[16:17]
	s_mov_b32 s19, 0x3c91a626
	v_fmac_f64_e32 v[26:27], s[18:19], v[24:25]
	v_fmac_f64_e32 v[26:27], s[4:5], v[14:15]
	v_add_f64 v[14:15], v[16:17], v[26:27]
	v_add_f64 v[16:17], v[14:15], -v[16:17]
	v_add_f64 v[16:17], v[26:27], -v[16:17]
	s_andn2_saveexec_b64 s[4:5], s[16:17]
	s_cbranch_execnz .LBB1_18
	s_branch .LBB1_19
.LBB1_17:
	s_andn2_saveexec_b64 s[4:5], s[16:17]
	s_cbranch_execz .LBB1_19
.LBB1_18:
	s_mov_b32 s16, 0x6dc9c883
	s_mov_b32 s17, 0x3fe45f30
	v_mul_f64 v[14:15], |v[10:11]|, s[16:17]
	s_mov_b32 s16, 0x54442d18
	v_rndne_f64_e32 v[24:25], v[14:15]
	s_mov_b32 s17, 0xbff921fb
	v_fma_f64 v[14:15], v[24:25], s[16:17], |v[10:11]|
	s_mov_b32 s17, 0xbc91a626
	s_mov_b32 s16, 0x33145c00
	v_mul_f64 v[26:27], v[24:25], s[16:17]
	v_add_f64 v[34:35], v[14:15], v[26:27]
	v_fma_f64 v[16:17], s[16:17], v[24:25], v[14:15]
	s_mov_b32 s17, 0x3c91a626
	v_add_f64 v[14:15], v[14:15], -v[34:35]
	v_fma_f64 v[28:29], s[16:17], v[24:25], v[26:27]
	v_add_f64 v[14:15], v[14:15], v[26:27]
	v_add_f64 v[26:27], v[34:35], -v[16:17]
	v_add_f64 v[14:15], v[26:27], v[14:15]
	s_mov_b32 s16, 0x252049c0
	v_add_f64 v[26:27], v[14:15], -v[28:29]
	s_mov_b32 s17, 0xb97b839a
	v_fmac_f64_e32 v[26:27], s[16:17], v[24:25]
	v_add_f64 v[14:15], v[16:17], v[26:27]
	v_add_f64 v[16:17], v[14:15], -v[16:17]
	v_add_f64 v[16:17], v[26:27], -v[16:17]
	v_cvt_i32_f64_e32 v31, v[24:25]
.LBB1_19:
	s_or_b64 exec, exec, s[4:5]
	v_div_scale_f64 v[24:25], s[4:5], v[18:19], v[18:19], 1.0
	v_rcp_f64_e32 v[26:27], v[24:25]
	v_div_scale_f64 v[28:29], vcc, 1.0, v[18:19], 1.0
	v_mov_b32_e32 v36, 0xb99518a7
	v_fma_f64 v[34:35], -v[24:25], v[26:27], 1.0
	v_fmac_f64_e32 v[26:27], v[26:27], v[34:35]
	v_fma_f64 v[34:35], -v[24:25], v[26:27], 1.0
	v_fmac_f64_e32 v[26:27], v[26:27], v[34:35]
	v_mul_f64 v[34:35], v[28:29], v[26:27]
	v_fma_f64 v[24:25], -v[24:25], v[34:35], v[28:29]
	v_div_fmas_f64 v[24:25], v[24:25], v[26:27], v[34:35]
	v_div_fixup_f64 v[18:19], v[24:25], v[18:19], 1.0
	v_mul_f64 v[24:25], v[18:19], v[18:19]
	v_mov_b32_e32 v26, 0xd50ae6fb
	v_mov_b32_e32 v27, 0xbfc0db6c
	v_fmac_f64_e32 v[26:27], 0, v[24:25]
	v_mov_b32_e32 v28, 0x98566852
	v_mov_b32_e32 v29, 0xbfe40bee
	v_fmac_f64_e32 v[28:29], v[24:25], v[26:27]
	;; [unrolled: 3-line block ×16, first 2 shown]
	v_mov_b32_e32 v37, 0x3e9e52b9
	v_mul_f64 v[38:39], v[20:21], v[20:21]
	v_fmac_f64_e32 v[36:37], v[24:25], v[34:35]
	v_mov_b32_e32 v34, 0xf68ea2d2
	v_mov_b32_e32 v35, 0xbe52041c
	v_mul_f64 v[26:27], v[38:39], 0.5
	v_fmac_f64_e32 v[34:35], v[24:25], v[28:29]
	v_add_f64 v[28:29], -v[26:27], 1.0
	s_mov_b32 s4, 0x9037ab78
	v_add_f64 v[48:49], -v[28:29], 1.0
	s_mov_b32 s5, 0x3e21eeb6
	s_mov_b32 s16, 0x46cc5e42
	v_add_f64 v[48:49], v[48:49], -v[26:27]
	s_mov_b32 s17, 0xbda907db
	v_pk_mov_b32 v[26:27], s[4:5], s[4:5] op_sel:[0,1]
	s_mov_b32 s18, 0xa17f65f6
	v_fma_f64 v[52:53], s[16:17], v[38:39], v[26:27]
	s_mov_b32 s19, 0xbe927e4f
	s_mov_b32 s20, 0x19f4ec90
	v_fma_f64 v[52:53], v[38:39], v[52:53], s[18:19]
	s_mov_b32 s21, 0x3efa01a0
	;; [unrolled: 3-line block ×4, first 2 shown]
	v_mul_f64 v[50:51], v[38:39], v[38:39]
	v_fma_f64 v[52:53], v[38:39], v[52:53], s[24:25]
	v_fma_f64 v[48:49], v[20:21], -v[22:23], v[48:49]
	s_mov_b32 s4, 0xb42fdfa7
	v_fmac_f64_e32 v[48:49], v[50:51], v[52:53]
	s_mov_b32 s5, 0xbe5ae600
	s_mov_b32 s26, 0xf9a43bb8
	v_add_f64 v[48:49], v[28:29], v[48:49]
	s_mov_b32 s27, 0x3de5e0b2
	v_pk_mov_b32 v[28:29], s[4:5], s[4:5] op_sel:[0,1]
	s_mov_b32 s28, 0x796cde01
	v_fma_f64 v[50:51], s[26:27], v[38:39], v[28:29]
	s_mov_b32 s29, 0x3ec71de3
	s_mov_b32 s30, 0x19e83e5c
	v_fma_f64 v[50:51], v[38:39], v[50:51], s[28:29]
	s_mov_b32 s31, 0xbf2a01a0
	;; [unrolled: 3-line block ×3, first 2 shown]
	v_fma_f64 v[50:51], v[38:39], v[50:51], s[34:35]
	v_mul_f64 v[52:53], v[20:21], -v[38:39]
	v_mul_f64 v[54:55], v[22:23], 0.5
	v_fmac_f64_e32 v[54:55], v[52:53], v[50:51]
	v_fma_f64 v[22:23], v[38:39], v[54:55], -v[22:23]
	s_mov_b32 s37, 0xbfc55555
	s_mov_b32 s36, s24
	v_fmac_f64_e32 v[22:23], s[36:37], v[52:53]
	v_add_f64 v[20:21], v[20:21], -v[22:23]
	v_and_b32_e32 v22, 1, v32
	v_cmp_eq_u32_e32 vcc, 0, v22
	v_cndmask_b32_e32 v38, v48, v20, vcc
	v_cndmask_b32_e32 v20, v49, v21, vcc
	v_lshlrev_b32_e32 v21, 30, v32
	v_xor_b32_e32 v21, v21, v11
	v_and_b32_e32 v21, 0x80000000, v21
	v_xor_b32_e32 v39, v20, v21
	v_mul_f64 v[20:21], v[24:25], v[34:35]
	v_div_scale_f64 v[22:23], s[4:5], v[36:37], v[36:37], v[20:21]
	v_rcp_f64_e32 v[32:33], v[22:23]
	s_movk_i32 vcc_lo, 0x1f8
	v_cmp_class_f64_e64 s[4:5], v[10:11], vcc_lo
	v_mov_b32_e32 v50, 0x7ff80000
	v_fma_f64 v[34:35], -v[22:23], v[32:33], 1.0
	v_fmac_f64_e32 v[32:33], v[32:33], v[34:35]
	v_fma_f64 v[34:35], -v[22:23], v[32:33], 1.0
	v_fmac_f64_e32 v[32:33], v[32:33], v[34:35]
	v_div_scale_f64 v[34:35], vcc, v[20:21], v[36:37], v[20:21]
	v_cndmask_b32_e64 v10, 0, v38, s[4:5]
	v_cndmask_b32_e64 v11, v50, v39, s[4:5]
	v_mul_f64 v[38:39], v[34:35], v[32:33]
	v_fma_f64 v[22:23], -v[22:23], v[38:39], v[34:35]
	v_div_fmas_f64 v[22:23], v[22:23], v[32:33], v[38:39]
	v_div_fixup_f64 v[20:21], v[22:23], v[36:37], v[20:21]
	v_mov_b32_e32 v22, 0xddcfbbde
	v_mov_b32_e32 v23, 0x3f943525
	v_fmac_f64_e32 v[22:23], 0, v[24:25]
	v_mov_b32_e32 v32, 0x6437b7
	v_mov_b32_e32 v33, 0x3fd907d5
	v_fmac_f64_e32 v[32:33], v[24:25], v[22:23]
	v_mov_b32_e32 v22, 0x3a2034eb
	v_mov_b32_e32 v23, 0x3ff10d83
	v_fmac_f64_e32 v[22:23], v[24:25], v[32:33]
	v_mov_b32_e32 v32, 0xa0ef1acb
	v_mov_b32_e32 v33, 0x3fee0dac
	v_fmac_f64_e32 v[32:33], v[24:25], v[22:23]
	v_mov_b32_e32 v22, 0xcea8fe1d
	v_mov_b32_e32 v23, 0x3fd67e69
	v_fmac_f64_e32 v[22:23], v[24:25], v[32:33]
	v_mov_b32_e32 v32, 0x21e90978
	v_mov_b32_e32 v33, 0x3fb03a41
	v_fmac_f64_e32 v[32:33], v[24:25], v[22:23]
	v_mov_b32_e32 v22, 0xf12f5043
	v_mov_b32_e32 v23, 0x3f77fe99
	v_fmac_f64_e32 v[22:23], v[24:25], v[32:33]
	v_mov_b32_e32 v32, 0x600e17a2
	v_mov_b32_e32 v33, 0x3f328976
	v_fmac_f64_e32 v[32:33], v[24:25], v[22:23]
	v_mov_b32_e32 v22, 0x69f8574e
	v_mov_b32_e32 v23, 0x3edd4f3d
	v_fmac_f64_e32 v[22:23], v[24:25], v[32:33]
	v_mov_b32_e32 v32, 0xbbad11c8
	v_mov_b32_e32 v33, 0x3e75ca92
	v_fmac_f64_e32 v[32:33], v[24:25], v[22:23]
	v_mov_b32_e32 v22, 0x7d97ee7a
	v_mov_b32_e32 v23, 0x3df778a4
	v_fmac_f64_e32 v[22:23], v[24:25], v[32:33]
	v_mov_b32_e32 v32, 0xf3d56b40
	v_mov_b32_e32 v33, 0x40229e2b
	v_fmac_f64_e32 v[32:33], 0, v[24:25]
	v_mov_b32_e32 v34, 0xc0ef18d4
	v_mov_b32_e32 v35, 0x4033d5d5
	v_fmac_f64_e32 v[34:35], v[24:25], v[32:33]
	v_mov_b32_e32 v32, 0x7ea7dc35
	v_mov_b32_e32 v33, 0x402f211b
	v_fmac_f64_e32 v[32:33], v[24:25], v[34:35]
	v_mov_b32_e32 v34, 0x2b79dbce
	v_mov_b32_e32 v35, 0x4015e84e
	v_fmac_f64_e32 v[34:35], v[24:25], v[32:33]
	v_mov_b32_e32 v32, 0xc195ece3
	v_mov_b32_e32 v33, 0x3fee8992
	v_fmac_f64_e32 v[32:33], v[24:25], v[34:35]
	v_mov_b32_e32 v34, 0xed64a9ee
	v_mov_b32_e32 v35, 0x3fb6221d
	s_mov_b32 vcc_lo, 0
	v_fmac_f64_e32 v[34:35], v[24:25], v[32:33]
	v_mov_b32_e32 v32, 0x6be393bb
	v_mov_b32_e32 v33, 0x3f70e704
	s_brev_b32 vcc_hi, 8
	v_fmac_f64_e32 v[32:33], v[24:25], v[34:35]
	v_mov_b32_e32 v34, 0xd603a5a0
	v_mov_b32_e32 v35, 0x3f1a8b61
	v_cmp_gt_f64_e32 vcc, vcc, v[2:3]
	v_fmac_f64_e32 v[34:35], v[24:25], v[32:33]
	v_cndmask_b32_e64 v32, 0, 1, vcc
	v_lshlrev_b32_e32 v32, 8, v32
	v_ldexp_f64 v[2:3], v[2:3], v32
	v_rsq_f64_e32 v[32:33], v[2:3]
	v_mov_b32_e32 v36, 0xdb0724e8
	v_mov_b32_e32 v37, 0x3eb3a845
	v_fmac_f64_e32 v[36:37], v[24:25], v[34:35]
	v_mul_f64 v[34:35], v[2:3], v[32:33]
	v_mul_f64 v[32:33], v[32:33], 0.5
	v_fma_f64 v[38:39], -v[32:33], v[34:35], 0.5
	v_fmac_f64_e32 v[34:35], v[34:35], v[38:39]
	v_fma_f64 v[48:49], -v[34:35], v[34:35], v[2:3]
	v_fmac_f64_e32 v[32:33], v[32:33], v[38:39]
	v_fmac_f64_e32 v[34:35], v[48:49], v[32:33]
	v_fma_f64 v[38:39], -v[34:35], v[34:35], v[2:3]
	v_fmac_f64_e32 v[34:35], v[38:39], v[32:33]
	v_mov_b32_e32 v32, 0xffffff80
	v_cndmask_b32_e32 v32, 0, v32, vcc
	v_ldexp_f64 v[32:33], v[34:35], v32
	v_mov_b32_e32 v34, 0x260
	v_cmp_class_f64_e32 vcc, v[2:3], v34
	s_mov_b32 s38, 0x50429b6d
	v_cndmask_b32_e32 v3, v33, v3, vcc
	v_cndmask_b32_e32 v2, v32, v2, vcc
	s_mov_b32 s39, 0x3fe20dd7
	v_div_scale_f64 v[32:33], vcc, v[2:3], v[2:3], s[38:39]
	v_rcp_f64_e32 v[34:35], v[32:33]
	v_mov_b32_e32 v38, 0x3dd589d4
	v_mov_b32_e32 v39, 0x3e351fc7
	v_fmac_f64_e32 v[38:39], v[24:25], v[36:37]
	v_fma_f64 v[24:25], -v[32:33], v[34:35], 1.0
	v_fmac_f64_e32 v[34:35], v[34:35], v[24:25]
	v_fma_f64 v[24:25], -v[32:33], v[34:35], 1.0
	v_fmac_f64_e32 v[34:35], v[34:35], v[24:25]
	v_div_scale_f64 v[24:25], vcc, s[38:39], v[2:3], s[38:39]
	v_mul_f64 v[36:37], v[24:25], v[34:35]
	v_fma_f64 v[24:25], -v[32:33], v[36:37], v[24:25]
	v_add_f64 v[20:21], v[20:21], 1.0
	s_nop 0
	v_div_fmas_f64 v[24:25], v[24:25], v[34:35], v[36:37]
	v_div_fixup_f64 v[2:3], v[24:25], v[2:3], s[38:39]
	v_mul_f64 v[24:25], v[14:15], v[14:15]
	v_mul_f64 v[32:33], v[24:25], 0.5
	v_fmac_f64_e32 v[26:27], s[16:17], v[24:25]
	v_add_f64 v[34:35], -v[32:33], 1.0
	v_fma_f64 v[26:27], v[24:25], v[26:27], s[18:19]
	v_add_f64 v[36:37], -v[34:35], 1.0
	v_fma_f64 v[26:27], v[24:25], v[26:27], s[20:21]
	v_add_f64 v[32:33], v[36:37], -v[32:33]
	v_fma_f64 v[26:27], v[24:25], v[26:27], s[22:23]
	v_fmac_f64_e32 v[28:29], s[26:27], v[24:25]
	v_mul_f64 v[36:37], v[24:25], v[24:25]
	v_fma_f64 v[26:27], v[24:25], v[26:27], s[24:25]
	v_fma_f64 v[32:33], v[14:15], -v[16:17], v[32:33]
	v_fma_f64 v[28:29], v[24:25], v[28:29], s[28:29]
	v_fmac_f64_e32 v[32:33], v[36:37], v[26:27]
	v_fma_f64 v[28:29], v[24:25], v[28:29], s[30:31]
	v_add_f64 v[26:27], v[34:35], v[32:33]
	v_fma_f64 v[28:29], v[24:25], v[28:29], s[34:35]
	v_mul_f64 v[32:33], v[14:15], -v[24:25]
	v_mul_f64 v[34:35], v[16:17], 0.5
	v_fmac_f64_e32 v[34:35], v[32:33], v[28:29]
	v_fma_f64 v[16:17], v[24:25], v[34:35], -v[16:17]
	v_fmac_f64_e32 v[16:17], s[36:37], v[32:33]
	v_add_f64 v[14:15], v[14:15], -v[16:17]
	v_and_b32_e32 v16, 1, v31
	v_cmp_eq_u32_e32 vcc, 0, v16
	v_xor_b32_e32 v15, 0x80000000, v15
	v_cndmask_b32_e32 v24, v14, v26, vcc
	v_lshlrev_b32_e32 v14, 30, v31
	v_cndmask_b32_e32 v25, v15, v27, vcc
	v_and_b32_e32 v26, 0x80000000, v14
	v_mul_f64 v[14:15], v[18:19], v[22:23]
	v_div_scale_f64 v[16:17], s[16:17], v[38:39], v[38:39], v[14:15]
	v_rcp_f64_e32 v[18:19], v[16:17]
	v_xor_b32_e32 v23, v25, v26
	v_cndmask_b32_e64 v22, 0, v24, s[4:5]
	v_cndmask_b32_e64 v23, v50, v23, s[4:5]
	v_fma_f64 v[24:25], -v[16:17], v[18:19], 1.0
	v_fmac_f64_e32 v[18:19], v[18:19], v[24:25]
	v_fma_f64 v[24:25], -v[16:17], v[18:19], 1.0
	v_fmac_f64_e32 v[18:19], v[18:19], v[24:25]
	v_div_scale_f64 v[24:25], vcc, v[14:15], v[38:39], v[14:15]
	v_mul_f64 v[26:27], v[24:25], v[18:19]
	v_fma_f64 v[16:17], -v[16:17], v[26:27], v[24:25]
	s_nop 1
	v_div_fmas_f64 v[16:17], v[16:17], v[18:19], v[26:27]
	v_div_fixup_f64 v[14:15], v[16:17], v[38:39], v[14:15]
	v_mul_f64 v[14:15], v[14:15], v[22:23]
	v_fma_f64 v[10:11], v[20:21], v[10:11], -v[14:15]
	v_mul_f64 v[2:3], v[2:3], v[10:11]
.LBB1_20:
	s_or_b64 exec, exec, s[14:15]
.LBB1_21:
	s_or_b64 exec, exec, s[12:13]
.LBB1_22:
	s_or_b64 exec, exec, s[10:11]
	v_cmp_neq_f64_e64 s[4:5], |v[12:13]|, s[8:9]
	s_and_saveexec_b64 s[8:9], s[4:5]
	s_cbranch_execz .LBB1_44
; %bb.23:
	s_mov_b32 s4, 0x872b020c
	s_mov_b32 s5, 0x4059f916
	v_cmp_nlt_f64_e32 vcc, s[4:5], v[12:13]
	v_pk_mov_b32 v[4:5], 0, 0
	s_and_saveexec_b64 s[10:11], vcc
	s_cbranch_execz .LBB1_43
; %bb.24:
	s_mov_b32 s5, 0xc000b851
	s_mov_b32 s4, 0xeb851eb8
	v_cmp_ngt_f64_e32 vcc, s[4:5], v[12:13]
	s_and_saveexec_b64 s[12:13], vcc
	s_xor_b64 s[12:13], exec, s[12:13]
	s_cbranch_execz .LBB1_32
; %bb.25:
	s_mov_b32 s5, 0x4000b851
	v_cmp_nle_f64_e64 s[14:15], s[4:5], v[12:13]
	v_cmp_le_f64_e32 vcc, s[4:5], v[12:13]
	v_pk_mov_b32 v[4:5], 0, 0
	s_mov_b64 s[4:5], s[14:15]
	s_and_saveexec_b64 s[16:17], vcc
	s_cbranch_execz .LBB1_27
; %bb.26:
	s_mov_b32 s4, 0
	s_brev_b32 s5, 8
	v_cmp_gt_f64_e32 vcc, s[4:5], v[12:13]
	v_cndmask_b32_e64 v4, 0, 1, vcc
	v_lshlrev_b32_e32 v4, 8, v4
	v_ldexp_f64 v[4:5], v[12:13], v4
	v_rsq_f64_e32 v[10:11], v[4:5]
	v_mov_b32_e32 v26, 0xffffff80
	v_mov_b32_e32 v27, 0x260
	v_add_f64 v[14:15], v[12:13], v[12:13]
	v_mul_f64 v[16:17], v[4:5], v[10:11]
	v_mul_f64 v[10:11], v[10:11], 0.5
	v_fma_f64 v[18:19], -v[10:11], v[16:17], 0.5
	v_fmac_f64_e32 v[16:17], v[16:17], v[18:19]
	v_fma_f64 v[20:21], -v[16:17], v[16:17], v[4:5]
	v_fmac_f64_e32 v[10:11], v[10:11], v[18:19]
	v_fmac_f64_e32 v[16:17], v[20:21], v[10:11]
	v_fma_f64 v[18:19], -v[16:17], v[16:17], v[4:5]
	v_fmac_f64_e32 v[16:17], v[18:19], v[10:11]
	v_cndmask_b32_e32 v10, 0, v26, vcc
	v_ldexp_f64 v[10:11], v[16:17], v10
	v_cmp_class_f64_e32 vcc, v[4:5], v27
	v_cndmask_b32_e32 v5, v11, v5, vcc
	v_cndmask_b32_e32 v4, v10, v4, vcc
	s_mov_b32 s18, 0
	v_mul_f64 v[10:11], v[14:15], v[4:5]
	s_mov_b32 s19, 0x40080000
	v_div_scale_f64 v[14:15], s[20:21], s[18:19], s[18:19], v[10:11]
	v_rcp_f64_e32 v[16:17], v[14:15]
	v_fma_f64 v[18:19], -v[14:15], v[16:17], 1.0
	v_fmac_f64_e32 v[16:17], v[16:17], v[18:19]
	v_fma_f64 v[18:19], -v[14:15], v[16:17], 1.0
	v_fmac_f64_e32 v[16:17], v[16:17], v[18:19]
	v_div_scale_f64 v[18:19], vcc, v[10:11], s[18:19], v[10:11]
	v_mul_f64 v[20:21], v[18:19], v[16:17]
	v_fma_f64 v[14:15], -v[14:15], v[20:21], v[18:19]
	s_nop 1
	v_div_fmas_f64 v[14:15], v[14:15], v[16:17], v[20:21]
	v_div_fixup_f64 v[10:11], v[14:15], s[18:19], v[10:11]
	v_div_scale_f64 v[14:15], s[18:19], v[10:11], v[10:11], 1.0
	v_rcp_f64_e32 v[16:17], v[14:15]
	v_fma_f64 v[18:19], -v[14:15], v[16:17], 1.0
	v_fmac_f64_e32 v[16:17], v[16:17], v[18:19]
	v_fma_f64 v[18:19], -v[14:15], v[16:17], 1.0
	v_fmac_f64_e32 v[16:17], v[16:17], v[18:19]
	v_div_scale_f64 v[18:19], vcc, 1.0, v[10:11], 1.0
	v_mul_f64 v[20:21], v[18:19], v[16:17]
	v_fma_f64 v[14:15], -v[14:15], v[20:21], v[18:19]
	v_mov_b32_e32 v18, 0x871a9067
	s_nop 0
	v_div_fmas_f64 v[14:15], v[14:15], v[16:17], v[20:21]
	v_div_fixup_f64 v[14:15], v[14:15], v[10:11], 1.0
	v_mov_b32_e32 v16, 0x2537b658
	v_mov_b32_e32 v17, 0x3fd62dae
	v_fmac_f64_e32 v[16:17], 0, v[14:15]
	v_mov_b32_e32 v19, 0x402803e3
	v_fmac_f64_e32 v[18:19], v[14:15], v[16:17]
	v_mov_b32_e32 v16, 0xde2e1e3
	v_mov_b32_e32 v17, 0x405311e5
	v_fmac_f64_e32 v[16:17], v[14:15], v[18:19]
	v_mov_b32_e32 v18, 0xee40073c
	;; [unrolled: 3-line block ×12, first 2 shown]
	v_mov_b32_e32 v19, 0x402c311b
	v_fmac_f64_e32 v[18:19], v[14:15], v[20:21]
	v_fma_f64 v[18:19], v[14:15], v[18:19], 1.0
	v_fma_f64 v[14:15], v[14:15], v[16:17], 1.0
	v_div_scale_f64 v[16:17], s[18:19], v[18:19], v[18:19], v[14:15]
	v_rcp_f64_e32 v[20:21], v[16:17]
	v_fma_f64 v[22:23], -v[16:17], v[20:21], 1.0
	v_fmac_f64_e32 v[20:21], v[20:21], v[22:23]
	v_fma_f64 v[22:23], -v[16:17], v[20:21], 1.0
	v_fmac_f64_e32 v[20:21], v[20:21], v[22:23]
	v_div_scale_f64 v[22:23], vcc, v[14:15], v[18:19], v[14:15]
	v_mul_f64 v[24:25], v[22:23], v[20:21]
	v_fma_f64 v[16:17], -v[16:17], v[24:25], v[22:23]
	s_nop 1
	v_div_fmas_f64 v[16:17], v[16:17], v[20:21], v[24:25]
	v_cmp_gt_f64_e32 vcc, s[4:5], v[4:5]
	v_div_fixup_f64 v[14:15], v[16:17], v[18:19], v[14:15]
	v_cndmask_b32_e64 v16, 0, 1, vcc
	v_lshlrev_b32_e32 v16, 8, v16
	v_ldexp_f64 v[4:5], v[4:5], v16
	v_rsq_f64_e32 v[16:17], v[4:5]
	s_mov_b32 s4, 0x50429b6d
	s_mov_b32 s5, 0x3fe20dd7
	v_mul_f64 v[14:15], v[14:15], s[4:5]
	v_mul_f64 v[18:19], v[4:5], v[16:17]
	v_mul_f64 v[16:17], v[16:17], 0.5
	v_fma_f64 v[20:21], -v[16:17], v[18:19], 0.5
	v_fmac_f64_e32 v[18:19], v[18:19], v[20:21]
	v_fma_f64 v[22:23], -v[18:19], v[18:19], v[4:5]
	v_fmac_f64_e32 v[16:17], v[16:17], v[20:21]
	v_fmac_f64_e32 v[18:19], v[22:23], v[16:17]
	v_fma_f64 v[20:21], -v[18:19], v[18:19], v[4:5]
	v_fmac_f64_e32 v[18:19], v[20:21], v[16:17]
	v_cndmask_b32_e32 v16, 0, v26, vcc
	s_mov_b32 s4, 0x652b82fe
	v_ldexp_f64 v[16:17], v[18:19], v16
	v_cmp_class_f64_e32 vcc, v[4:5], v27
	s_mov_b32 s5, 0x3ff71547
	v_cndmask_b32_e32 v5, v17, v5, vcc
	v_cndmask_b32_e32 v4, v16, v4, vcc
	v_mul_f64 v[16:17], v[10:11], s[4:5]
	s_mov_b32 s4, 0xfefa39ef
	v_rndne_f64_e32 v[16:17], v[16:17]
	s_mov_b32 s5, 0xbfe62e42
	v_fma_f64 v[18:19], s[4:5], v[16:17], v[10:11]
	s_mov_b32 s4, 0x3b39803f
	s_mov_b32 s5, 0xbc7abc9e
	v_fmac_f64_e32 v[18:19], s[4:5], v[16:17]
	s_mov_b32 s4, 0x6a5dcb37
	v_mov_b32_e32 v20, 0xfca7ab0c
	v_mov_b32_e32 v21, 0x3e928af3
	s_mov_b32 s5, 0x3e5ade15
	v_fmac_f64_e32 v[20:21], s[4:5], v[18:19]
	v_mov_b32_e32 v22, 0x623fde64
	v_mov_b32_e32 v23, 0x3ec71dee
	v_fmac_f64_e32 v[22:23], v[18:19], v[20:21]
	v_mov_b32_e32 v20, 0x7c89e6b0
	v_mov_b32_e32 v21, 0x3efa0199
	;; [unrolled: 3-line block ×8, first 2 shown]
	s_mov_b32 s4, 0
	v_fmac_f64_e32 v[20:21], v[18:19], v[22:23]
	s_mov_b32 s5, 0x40900000
	v_fma_f64 v[20:21], v[18:19], v[20:21], 1.0
	v_cmp_nlt_f64_e32 vcc, s[4:5], v[10:11]
	s_mov_b32 s4, 0
	v_fma_f64 v[18:19], v[18:19], v[20:21], 1.0
	v_cvt_i32_f64_e32 v16, v[16:17]
	s_mov_b32 s5, 0xc090cc00
	v_ldexp_f64 v[16:17], v[18:19], v16
	v_mov_b32_e32 v18, 0x7ff00000
	v_cmp_ngt_f64_e64 s[4:5], s[4:5], v[10:11]
	v_cndmask_b32_e32 v17, v18, v17, vcc
	s_and_b64 vcc, s[4:5], vcc
	v_add_f64 v[4:5], v[4:5], v[4:5]
	v_cndmask_b32_e64 v11, 0, v17, s[4:5]
	v_cndmask_b32_e32 v10, 0, v16, vcc
	v_mul_f64 v[4:5], v[4:5], v[10:11]
	v_div_scale_f64 v[10:11], s[4:5], v[4:5], v[4:5], v[14:15]
	v_rcp_f64_e32 v[16:17], v[10:11]
	s_mov_b32 s4, 0xfd0a823a
	s_mov_b32 s5, 0x4020a402
	v_fma_f64 v[18:19], -v[10:11], v[16:17], 1.0
	v_fmac_f64_e32 v[16:17], v[16:17], v[18:19]
	v_fma_f64 v[18:19], -v[10:11], v[16:17], 1.0
	v_fmac_f64_e32 v[16:17], v[16:17], v[18:19]
	v_div_scale_f64 v[18:19], vcc, v[14:15], v[4:5], v[14:15]
	v_mul_f64 v[20:21], v[18:19], v[16:17]
	v_fma_f64 v[10:11], -v[10:11], v[20:21], v[18:19]
	s_nop 1
	v_div_fmas_f64 v[10:11], v[10:11], v[16:17], v[20:21]
	v_cmp_nlt_f64_e32 vcc, s[4:5], v[12:13]
	s_andn2_b64 s[4:5], s[14:15], exec
	s_and_b64 s[18:19], vcc, exec
	v_div_fixup_f64 v[4:5], v[10:11], v[4:5], v[14:15]
	s_or_b64 s[4:5], s[4:5], s[18:19]
.LBB1_27:
	s_or_b64 exec, exec, s[16:17]
	s_and_saveexec_b64 s[16:17], s[4:5]
	s_cbranch_execz .LBB1_31
; %bb.28:
	v_mov_b32_e32 v20, 0
	v_mul_f64 v[10:11], v[12:13], v[12:13]
	v_mov_b32_e32 v21, 0x3ff00000
	s_mov_b32 s20, 0
	v_mul_f64 v[14:15], v[12:13], v[10:11]
	s_mov_b64 s[18:19], 0
	s_mov_b32 s21, 0x3cb00000
	v_pk_mov_b32 v[18:19], v[20:21], v[20:21] op_sel:[0,1]
	v_pk_mov_b32 v[16:17], v[12:13], v[12:13] op_sel:[0,1]
	;; [unrolled: 1-line block ×3, first 2 shown]
.LBB1_29:                               ; =>This Inner Loop Header: Depth=1
	v_mul_f64 v[20:21], v[14:15], v[20:21]
	v_add_f64 v[22:23], v[18:19], 1.0
	v_mul_f64 v[12:13], v[14:15], v[12:13]
	v_div_scale_f64 v[24:25], s[4:5], v[22:23], v[22:23], v[20:21]
	v_add_f64 v[28:29], v[22:23], 1.0
	v_rcp_f64_e32 v[32:33], v[24:25]
	v_div_scale_f64 v[34:35], s[4:5], v[28:29], v[28:29], v[12:13]
	v_rcp_f64_e32 v[38:39], v[34:35]
	v_fma_f64 v[48:49], -v[24:25], v[32:33], 1.0
	v_fmac_f64_e32 v[32:33], v[32:33], v[48:49]
	v_fma_f64 v[50:51], -v[24:25], v[32:33], 1.0
	v_fma_f64 v[48:49], -v[34:35], v[38:39], 1.0
	v_fmac_f64_e32 v[38:39], v[38:39], v[48:49]
	v_div_scale_f64 v[26:27], vcc, v[20:21], v[22:23], v[20:21]
	v_fmac_f64_e32 v[32:33], v[32:33], v[50:51]
	v_fma_f64 v[48:49], -v[34:35], v[38:39], 1.0
	v_div_scale_f64 v[36:37], s[4:5], v[12:13], v[28:29], v[12:13]
	v_mul_f64 v[50:51], v[26:27], v[32:33]
	v_fmac_f64_e32 v[38:39], v[38:39], v[48:49]
	v_fma_f64 v[24:25], -v[24:25], v[50:51], v[26:27]
	v_mul_f64 v[26:27], v[36:37], v[38:39]
	v_div_fmas_f64 v[24:25], v[24:25], v[32:33], v[50:51]
	v_fma_f64 v[32:33], -v[34:35], v[26:27], v[36:37]
	s_mov_b64 vcc, s[4:5]
	v_div_fixup_f64 v[20:21], v[24:25], v[22:23], v[20:21]
	v_div_fmas_f64 v[22:23], v[32:33], v[38:39], v[26:27]
	v_div_fixup_f64 v[12:13], v[22:23], v[28:29], v[12:13]
	v_div_scale_f64 v[22:23], s[4:5], v[28:29], v[28:29], v[20:21]
	v_add_f64 v[18:19], v[28:29], 1.0
	v_rcp_f64_e32 v[26:27], v[22:23]
	v_div_scale_f64 v[32:33], s[4:5], v[18:19], v[18:19], v[12:13]
	v_rcp_f64_e32 v[36:37], v[32:33]
	v_fma_f64 v[38:39], -v[22:23], v[26:27], 1.0
	v_fmac_f64_e32 v[26:27], v[26:27], v[38:39]
	v_fma_f64 v[48:49], -v[22:23], v[26:27], 1.0
	v_fma_f64 v[38:39], -v[32:33], v[36:37], 1.0
	v_div_scale_f64 v[24:25], vcc, v[20:21], v[28:29], v[20:21]
	v_fmac_f64_e32 v[36:37], v[36:37], v[38:39]
	v_fmac_f64_e32 v[26:27], v[26:27], v[48:49]
	v_fma_f64 v[38:39], -v[32:33], v[36:37], 1.0
	v_mul_f64 v[48:49], v[24:25], v[26:27]
	v_div_scale_f64 v[34:35], s[4:5], v[12:13], v[18:19], v[12:13]
	v_fmac_f64_e32 v[36:37], v[36:37], v[38:39]
	v_fma_f64 v[22:23], -v[22:23], v[48:49], v[24:25]
	v_mul_f64 v[24:25], v[34:35], v[36:37]
	v_div_fmas_f64 v[22:23], v[22:23], v[26:27], v[48:49]
	v_fma_f64 v[26:27], -v[32:33], v[24:25], v[34:35]
	v_div_fixup_f64 v[20:21], v[22:23], v[28:29], v[20:21]
	s_mov_b64 vcc, s[4:5]
	v_div_fmas_f64 v[22:23], v[26:27], v[36:37], v[24:25]
	v_add_f64 v[10:11], v[10:11], v[20:21]
	v_div_fixup_f64 v[12:13], v[22:23], v[18:19], v[12:13]
	v_div_scale_f64 v[22:23], s[4:5], v[10:11], v[10:11], v[20:21]
	v_rcp_f64_e32 v[24:25], v[22:23]
	v_div_scale_f64 v[26:27], vcc, v[20:21], v[10:11], v[20:21]
	v_add_f64 v[16:17], v[16:17], v[12:13]
	v_fma_f64 v[28:29], -v[22:23], v[24:25], 1.0
	v_fmac_f64_e32 v[24:25], v[24:25], v[28:29]
	v_fma_f64 v[28:29], -v[22:23], v[24:25], 1.0
	v_fmac_f64_e32 v[24:25], v[24:25], v[28:29]
	v_mul_f64 v[28:29], v[26:27], v[24:25]
	v_fma_f64 v[22:23], -v[22:23], v[28:29], v[26:27]
	v_div_fmas_f64 v[22:23], v[22:23], v[24:25], v[28:29]
	v_div_fixup_f64 v[22:23], v[22:23], v[10:11], v[20:21]
	v_cmp_ngt_f64_e64 s[4:5], |v[22:23]|, s[20:21]
	s_or_b64 s[18:19], s[4:5], s[18:19]
	s_andn2_b64 exec, exec, s[18:19]
	s_cbranch_execnz .LBB1_29
; %bb.30:
	s_or_b64 exec, exec, s[18:19]
	s_mov_b32 s4, 0x42b70f8b
	s_mov_b32 s5, 0xbfd0907f
	v_mul_f64 v[12:13], v[16:17], s[4:5]
	s_mov_b32 s4, 0x962715b8
	s_mov_b32 s5, 0x3fd6b8c7
	v_fmac_f64_e32 v[12:13], s[4:5], v[10:11]
	v_cndmask_b32_e64 v5, v5, v13, s[14:15]
	v_cndmask_b32_e64 v4, v4, v12, s[14:15]
.LBB1_31:
	s_or_b64 exec, exec, s[16:17]
                                        ; implicit-def: $vgpr12_vgpr13
.LBB1_32:
	s_andn2_saveexec_b64 s[12:13], s[12:13]
	s_cbranch_execz .LBB1_42
; %bb.33:
	s_mov_b32 s4, 0
	s_brev_b32 s5, 9
	v_cmp_lt_f64_e32 vcc, s[4:5], v[12:13]
	v_cndmask_b32_e64 v4, 0, 1, vcc
	v_lshlrev_b32_e32 v4, 8, v4
	v_ldexp_f64 v[4:5], -v[12:13], v4
	v_rsq_f64_e32 v[10:11], v[4:5]
	v_mul_f64 v[12:13], v[12:13], -2.0
	s_mov_b32 s14, 0
	s_mov_b32 s15, 0x40080000
	v_mul_f64 v[14:15], v[4:5], v[10:11]
	v_mul_f64 v[10:11], v[10:11], 0.5
	v_fma_f64 v[16:17], -v[10:11], v[14:15], 0.5
	v_fmac_f64_e32 v[14:15], v[14:15], v[16:17]
	v_fma_f64 v[18:19], -v[14:15], v[14:15], v[4:5]
	v_fmac_f64_e32 v[10:11], v[10:11], v[16:17]
	v_fmac_f64_e32 v[14:15], v[18:19], v[10:11]
	v_fma_f64 v[16:17], -v[14:15], v[14:15], v[4:5]
	v_fmac_f64_e32 v[14:15], v[16:17], v[10:11]
	v_mov_b32_e32 v10, 0xffffff80
	v_cndmask_b32_e32 v10, 0, v10, vcc
	v_ldexp_f64 v[10:11], v[14:15], v10
	v_mov_b32_e32 v14, 0x260
	v_cmp_class_f64_e32 vcc, v[4:5], v14
	v_cndmask_b32_e32 v5, v11, v5, vcc
	v_cndmask_b32_e32 v4, v10, v4, vcc
	v_mul_f64 v[10:11], v[12:13], v[4:5]
	v_div_scale_f64 v[12:13], s[4:5], s[14:15], s[14:15], v[10:11]
	v_rcp_f64_e32 v[14:15], v[12:13]
	s_mov_b32 s17, 0x3fe921fb
	s_mov_b32 s16, 0x54442d18
	s_movk_i32 s4, 0xff80
	v_fma_f64 v[16:17], -v[12:13], v[14:15], 1.0
	v_fmac_f64_e32 v[14:15], v[14:15], v[16:17]
	v_fma_f64 v[16:17], -v[12:13], v[14:15], 1.0
	v_fmac_f64_e32 v[14:15], v[14:15], v[16:17]
	v_div_scale_f64 v[16:17], vcc, v[10:11], s[14:15], v[10:11]
	v_mul_f64 v[18:19], v[16:17], v[14:15]
	v_fma_f64 v[12:13], -v[12:13], v[18:19], v[16:17]
                                        ; implicit-def: $vgpr29
                                        ; implicit-def: $vgpr20_vgpr21
	s_nop 1
	v_div_fmas_f64 v[12:13], v[12:13], v[14:15], v[18:19]
	v_div_fixup_f64 v[16:17], v[12:13], s[14:15], v[10:11]
	s_mov_b32 s14, 0
	v_add_f64 v[10:11], v[16:17], s[16:17]
	s_mov_b32 s15, 0x41d00000
	v_cmp_nlt_f64_e64 s[14:15], |v[10:11]|, s[14:15]
	v_trig_preop_f64 v[26:27], |v[10:11]|, 0
	v_trig_preop_f64 v[24:25], |v[10:11]|, 1
	;; [unrolled: 1-line block ×3, first 2 shown]
                                        ; implicit-def: $vgpr18_vgpr19
	s_and_saveexec_b64 s[18:19], s[14:15]
	s_xor_b64 s[18:19], exec, s[18:19]
	s_cbranch_execz .LBB1_35
; %bb.34:
	s_mov_b32 s20, 0
	s_mov_b32 s21, 0x7b000000
	v_and_b32_e32 v14, 0x7fffffff, v11
	v_ldexp_f64 v[12:13], |v[10:11]|, s4
	v_cmp_ge_f64_e64 vcc, |v[10:11]|, s[20:21]
	v_cndmask_b32_e32 v13, v14, v13, vcc
	v_cndmask_b32_e32 v12, v10, v12, vcc
	v_mul_f64 v[18:19], v[26:27], v[12:13]
	v_mul_f64 v[14:15], v[24:25], v[12:13]
	v_fma_f64 v[20:21], v[26:27], v[12:13], -v[18:19]
	v_add_f64 v[28:29], v[14:15], v[20:21]
	v_add_f64 v[32:33], v[18:19], v[28:29]
	s_mov_b32 s4, 0
	v_ldexp_f64 v[34:35], v[32:33], -2
	s_mov_b32 s5, 0x7ff00000
	v_fract_f64_e32 v[36:37], v[34:35]
	v_cmp_neq_f64_e64 vcc, |v[34:35]|, s[4:5]
	v_cndmask_b32_e32 v35, 0, v37, vcc
	v_cndmask_b32_e32 v34, 0, v36, vcc
	v_add_f64 v[36:37], v[28:29], -v[14:15]
	v_add_f64 v[20:21], v[20:21], -v[36:37]
	;; [unrolled: 1-line block ×4, first 2 shown]
	v_add_f64 v[20:21], v[20:21], v[36:37]
	v_fma_f64 v[14:15], v[24:25], v[12:13], -v[14:15]
	v_mul_f64 v[36:37], v[22:23], v[12:13]
	v_add_f64 v[48:49], v[36:37], v[14:15]
	v_add_f64 v[50:51], v[48:49], v[20:21]
	v_add_f64 v[18:19], v[32:33], -v[18:19]
	v_add_f64 v[32:33], v[50:51], -v[48:49]
	;; [unrolled: 1-line block ×5, first 2 shown]
	v_add_f64 v[20:21], v[20:21], v[32:33]
	v_add_f64 v[32:33], v[48:49], -v[36:37]
	v_add_f64 v[14:15], v[14:15], -v[32:33]
	;; [unrolled: 1-line block ×5, first 2 shown]
	v_add_f64 v[28:29], v[18:19], v[50:51]
	v_add_f64 v[14:15], v[14:15], v[32:33]
	v_add_f64 v[18:19], v[28:29], -v[18:19]
	v_add_f64 v[14:15], v[14:15], v[20:21]
	v_fma_f64 v[12:13], v[22:23], v[12:13], -v[36:37]
	v_add_f64 v[18:19], v[50:51], -v[18:19]
	v_add_f64 v[12:13], v[12:13], v[14:15]
	v_ldexp_f64 v[14:15], v[34:35], 2
	v_add_f64 v[12:13], v[18:19], v[12:13]
	v_add_f64 v[18:19], v[28:29], v[14:15]
	v_mov_b32_e32 v20, 0x40100000
	v_cmp_gt_f64_e32 vcc, 0, v[18:19]
	v_mov_b32_e32 v38, 0
	v_cndmask_b32_e32 v39, 0, v20, vcc
	v_add_f64 v[14:15], v[14:15], v[38:39]
	v_add_f64 v[18:19], v[28:29], v[14:15]
	v_cvt_i32_f64_e32 v20, v[18:19]
	v_cvt_f64_i32_e32 v[18:19], v20
	v_add_f64 v[14:15], v[14:15], -v[18:19]
	v_add_f64 v[18:19], v[28:29], v[14:15]
	v_add_f64 v[14:15], v[18:19], -v[14:15]
	v_add_f64 v[14:15], v[28:29], -v[14:15]
	v_add_f64 v[12:13], v[12:13], v[14:15]
	v_cmp_le_f64_e32 vcc, 0.5, v[18:19]
	v_mov_b32_e32 v14, 0x3ff00000
	v_cndmask_b32_e32 v39, 0, v14, vcc
	v_add_f64 v[14:15], v[18:19], -v[38:39]
	v_add_f64 v[18:19], v[14:15], v[12:13]
	v_addc_co_u32_e64 v29, s[4:5], 0, v20, vcc
	v_add_f64 v[14:15], v[18:19], -v[14:15]
	s_mov_b32 s17, 0x3ff921fb
	v_add_f64 v[12:13], v[12:13], -v[14:15]
	v_mul_f64 v[14:15], v[18:19], s[16:17]
	s_mov_b32 s4, 0x33145c07
	v_fma_f64 v[20:21], v[18:19], s[16:17], -v[14:15]
	s_mov_b32 s5, 0x3c91a626
	v_fmac_f64_e32 v[20:21], s[4:5], v[18:19]
	v_fmac_f64_e32 v[20:21], s[16:17], v[12:13]
	v_add_f64 v[18:19], v[14:15], v[20:21]
	v_add_f64 v[12:13], v[18:19], -v[14:15]
	v_add_f64 v[20:21], v[20:21], -v[12:13]
	s_andn2_saveexec_b64 s[4:5], s[18:19]
	s_cbranch_execz .LBB1_37
	s_branch .LBB1_36
.LBB1_35:
	s_andn2_saveexec_b64 s[4:5], s[18:19]
	s_cbranch_execz .LBB1_37
.LBB1_36:
	s_mov_b32 s16, 0x6dc9c883
	s_mov_b32 s17, 0x3fe45f30
	v_mul_f64 v[12:13], |v[10:11]|, s[16:17]
	s_mov_b32 s16, 0x54442d18
	v_rndne_f64_e32 v[12:13], v[12:13]
	s_mov_b32 s17, 0xbff921fb
	v_fma_f64 v[14:15], v[12:13], s[16:17], |v[10:11]|
	s_mov_b32 s17, 0xbc91a626
	s_mov_b32 s16, 0x33145c00
	v_mul_f64 v[18:19], v[12:13], s[16:17]
	v_add_f64 v[32:33], v[14:15], v[18:19]
	v_fma_f64 v[20:21], s[16:17], v[12:13], v[14:15]
	s_mov_b32 s17, 0x3c91a626
	v_add_f64 v[14:15], v[14:15], -v[32:33]
	v_fma_f64 v[28:29], s[16:17], v[12:13], v[18:19]
	v_add_f64 v[14:15], v[14:15], v[18:19]
	v_add_f64 v[18:19], v[32:33], -v[20:21]
	v_add_f64 v[14:15], v[18:19], v[14:15]
	s_mov_b32 s16, 0x252049c0
	v_add_f64 v[14:15], v[14:15], -v[28:29]
	s_mov_b32 s17, 0xb97b839a
	v_fmac_f64_e32 v[14:15], s[16:17], v[12:13]
	v_add_f64 v[18:19], v[20:21], v[14:15]
	v_add_f64 v[20:21], v[18:19], -v[20:21]
	v_add_f64 v[20:21], v[14:15], -v[20:21]
	v_cvt_i32_f64_e32 v29, v[12:13]
.LBB1_37:
	s_or_b64 exec, exec, s[4:5]
                                        ; implicit-def: $vgpr28
                                        ; implicit-def: $vgpr12_vgpr13
                                        ; implicit-def: $vgpr14_vgpr15
	s_and_saveexec_b64 s[4:5], s[14:15]
	s_xor_b64 s[14:15], exec, s[4:5]
	s_cbranch_execz .LBB1_39
; %bb.38:
	s_mov_b32 s4, 0
	s_mov_b32 s5, 0x7b000000
	s_movk_i32 s16, 0xff80
	v_and_b32_e32 v14, 0x7fffffff, v11
	v_ldexp_f64 v[12:13], |v[10:11]|, s16
	v_cmp_ge_f64_e64 vcc, |v[10:11]|, s[4:5]
	v_cndmask_b32_e32 v13, v14, v13, vcc
	v_cndmask_b32_e32 v12, v10, v12, vcc
	v_mul_f64 v[32:33], v[26:27], v[12:13]
	v_mul_f64 v[14:15], v[24:25], v[12:13]
	v_fma_f64 v[26:27], v[26:27], v[12:13], -v[32:33]
	v_add_f64 v[34:35], v[14:15], v[26:27]
	v_add_f64 v[36:37], v[32:33], v[34:35]
	s_mov_b32 s4, 0
	v_ldexp_f64 v[38:39], v[36:37], -2
	s_mov_b32 s5, 0x7ff00000
	v_fract_f64_e32 v[48:49], v[38:39]
	v_cmp_neq_f64_e64 vcc, |v[38:39]|, s[4:5]
	v_cndmask_b32_e32 v39, 0, v49, vcc
	v_cndmask_b32_e32 v38, 0, v48, vcc
	v_add_f64 v[48:49], v[34:35], -v[14:15]
	v_add_f64 v[26:27], v[26:27], -v[48:49]
	;; [unrolled: 1-line block ×4, first 2 shown]
	v_fma_f64 v[14:15], v[24:25], v[12:13], -v[14:15]
	v_mul_f64 v[24:25], v[22:23], v[12:13]
	v_add_f64 v[26:27], v[26:27], v[48:49]
	v_add_f64 v[48:49], v[24:25], v[14:15]
	;; [unrolled: 1-line block ×3, first 2 shown]
	v_add_f64 v[32:33], v[36:37], -v[32:33]
	v_add_f64 v[36:37], v[52:53], -v[48:49]
	v_add_f64 v[26:27], v[26:27], -v[36:37]
	v_add_f64 v[36:37], v[52:53], -v[36:37]
	v_add_f64 v[36:37], v[48:49], -v[36:37]
	v_add_f64 v[26:27], v[26:27], v[36:37]
	v_add_f64 v[36:37], v[48:49], -v[24:25]
	v_add_f64 v[14:15], v[14:15], -v[36:37]
	;; [unrolled: 1-line block ×4, first 2 shown]
	v_add_f64 v[14:15], v[14:15], v[36:37]
	v_add_f64 v[32:33], v[34:35], -v[32:33]
	v_add_f64 v[14:15], v[14:15], v[26:27]
	v_fma_f64 v[12:13], v[22:23], v[12:13], -v[24:25]
	v_add_f64 v[34:35], v[32:33], v[52:53]
	v_add_f64 v[12:13], v[12:13], v[14:15]
	v_ldexp_f64 v[14:15], v[38:39], 2
	v_add_f64 v[22:23], v[34:35], v[14:15]
	v_mov_b32_e32 v24, 0x40100000
	v_cmp_gt_f64_e32 vcc, 0, v[22:23]
	v_mov_b32_e32 v50, 0
	v_cndmask_b32_e32 v51, 0, v24, vcc
	v_add_f64 v[14:15], v[14:15], v[50:51]
	v_add_f64 v[22:23], v[34:35], v[14:15]
	v_cvt_i32_f64_e32 v24, v[22:23]
	v_cvt_f64_i32_e32 v[22:23], v24
	v_add_f64 v[14:15], v[14:15], -v[22:23]
	v_add_f64 v[32:33], v[34:35], -v[32:33]
	v_add_f64 v[22:23], v[34:35], v[14:15]
	v_add_f64 v[32:33], v[52:53], -v[32:33]
	v_add_f64 v[14:15], v[22:23], -v[14:15]
	v_add_f64 v[12:13], v[32:33], v[12:13]
	v_add_f64 v[14:15], v[34:35], -v[14:15]
	v_add_f64 v[12:13], v[12:13], v[14:15]
	v_cmp_le_f64_e32 vcc, 0.5, v[22:23]
	v_mov_b32_e32 v14, 0x3ff00000
	v_cndmask_b32_e32 v51, 0, v14, vcc
	v_addc_co_u32_e64 v28, s[4:5], 0, v24, vcc
	v_add_f64 v[14:15], v[22:23], -v[50:51]
	v_add_f64 v[22:23], v[14:15], v[12:13]
	s_mov_b32 s4, 0x54442d18
	v_add_f64 v[14:15], v[22:23], -v[14:15]
	s_mov_b32 s5, 0x3ff921fb
	v_add_f64 v[12:13], v[12:13], -v[14:15]
	v_mul_f64 v[14:15], v[22:23], s[4:5]
	s_mov_b32 s16, 0x33145c07
	v_fma_f64 v[24:25], v[22:23], s[4:5], -v[14:15]
	s_mov_b32 s17, 0x3c91a626
	v_fmac_f64_e32 v[24:25], s[16:17], v[22:23]
	v_fmac_f64_e32 v[24:25], s[4:5], v[12:13]
	v_add_f64 v[12:13], v[14:15], v[24:25]
	v_add_f64 v[14:15], v[12:13], -v[14:15]
	v_add_f64 v[14:15], v[24:25], -v[14:15]
	s_andn2_saveexec_b64 s[4:5], s[14:15]
	s_cbranch_execnz .LBB1_40
	s_branch .LBB1_41
.LBB1_39:
	s_andn2_saveexec_b64 s[4:5], s[14:15]
	s_cbranch_execz .LBB1_41
.LBB1_40:
	s_mov_b32 s14, 0x6dc9c883
	s_mov_b32 s15, 0x3fe45f30
	v_mul_f64 v[12:13], |v[10:11]|, s[14:15]
	s_mov_b32 s14, 0x54442d18
	v_rndne_f64_e32 v[22:23], v[12:13]
	s_mov_b32 s15, 0xbff921fb
	v_fma_f64 v[12:13], v[22:23], s[14:15], |v[10:11]|
	s_mov_b32 s15, 0xbc91a626
	s_mov_b32 s14, 0x33145c00
	v_mul_f64 v[24:25], v[22:23], s[14:15]
	v_add_f64 v[32:33], v[12:13], v[24:25]
	v_fma_f64 v[14:15], s[14:15], v[22:23], v[12:13]
	s_mov_b32 s15, 0x3c91a626
	v_add_f64 v[12:13], v[12:13], -v[32:33]
	v_fma_f64 v[26:27], s[14:15], v[22:23], v[24:25]
	v_add_f64 v[12:13], v[12:13], v[24:25]
	v_add_f64 v[24:25], v[32:33], -v[14:15]
	v_add_f64 v[12:13], v[24:25], v[12:13]
	s_mov_b32 s14, 0x252049c0
	v_add_f64 v[24:25], v[12:13], -v[26:27]
	s_mov_b32 s15, 0xb97b839a
	v_fmac_f64_e32 v[24:25], s[14:15], v[22:23]
	v_add_f64 v[12:13], v[14:15], v[24:25]
	v_add_f64 v[14:15], v[12:13], -v[14:15]
	v_add_f64 v[14:15], v[24:25], -v[14:15]
	v_cvt_i32_f64_e32 v28, v[22:23]
.LBB1_41:
	s_or_b64 exec, exec, s[4:5]
	v_div_scale_f64 v[22:23], s[4:5], v[16:17], v[16:17], 1.0
	v_rcp_f64_e32 v[24:25], v[22:23]
	v_div_scale_f64 v[26:27], vcc, 1.0, v[16:17], 1.0
	v_mov_b32_e32 v34, 0xb99518a7
	v_fma_f64 v[32:33], -v[22:23], v[24:25], 1.0
	v_fmac_f64_e32 v[24:25], v[24:25], v[32:33]
	v_fma_f64 v[32:33], -v[22:23], v[24:25], 1.0
	v_fmac_f64_e32 v[24:25], v[24:25], v[32:33]
	v_mul_f64 v[32:33], v[26:27], v[24:25]
	v_fma_f64 v[22:23], -v[22:23], v[32:33], v[26:27]
	v_div_fmas_f64 v[22:23], v[22:23], v[24:25], v[32:33]
	v_div_fixup_f64 v[16:17], v[22:23], v[16:17], 1.0
	v_mul_f64 v[22:23], v[16:17], v[16:17]
	v_mov_b32_e32 v24, 0xd50ae6fb
	v_mov_b32_e32 v25, 0xbfc0db6c
	v_fmac_f64_e32 v[24:25], 0, v[22:23]
	v_mov_b32_e32 v26, 0x98566852
	v_mov_b32_e32 v27, 0xbfe40bee
	v_fmac_f64_e32 v[26:27], v[22:23], v[24:25]
	;; [unrolled: 3-line block ×16, first 2 shown]
	v_mov_b32_e32 v35, 0x3e9e52b9
	v_mul_f64 v[36:37], v[18:19], v[18:19]
	v_fmac_f64_e32 v[34:35], v[22:23], v[32:33]
	v_mov_b32_e32 v32, 0xf68ea2d2
	v_mov_b32_e32 v33, 0xbe52041c
	v_mul_f64 v[24:25], v[36:37], 0.5
	v_fmac_f64_e32 v[32:33], v[22:23], v[26:27]
	v_add_f64 v[26:27], -v[24:25], 1.0
	s_mov_b32 s4, 0x9037ab78
	v_add_f64 v[38:39], -v[26:27], 1.0
	s_mov_b32 s5, 0x3e21eeb6
	s_mov_b32 s14, 0x46cc5e42
	v_add_f64 v[38:39], v[38:39], -v[24:25]
	s_mov_b32 s15, 0xbda907db
	v_pk_mov_b32 v[24:25], s[4:5], s[4:5] op_sel:[0,1]
	s_mov_b32 s16, 0xa17f65f6
	v_fma_f64 v[50:51], s[14:15], v[36:37], v[24:25]
	s_mov_b32 s17, 0xbe927e4f
	s_mov_b32 s18, 0x19f4ec90
	v_fma_f64 v[50:51], v[36:37], v[50:51], s[16:17]
	s_mov_b32 s19, 0x3efa01a0
	;; [unrolled: 3-line block ×4, first 2 shown]
	v_mul_f64 v[48:49], v[36:37], v[36:37]
	v_fma_f64 v[50:51], v[36:37], v[50:51], s[22:23]
	v_fma_f64 v[38:39], v[18:19], -v[20:21], v[38:39]
	s_mov_b32 s4, 0xb42fdfa7
	v_fmac_f64_e32 v[38:39], v[48:49], v[50:51]
	s_mov_b32 s5, 0xbe5ae600
	s_mov_b32 s24, 0xf9a43bb8
	v_add_f64 v[38:39], v[26:27], v[38:39]
	s_mov_b32 s25, 0x3de5e0b2
	v_pk_mov_b32 v[26:27], s[4:5], s[4:5] op_sel:[0,1]
	s_mov_b32 s26, 0x796cde01
	v_fma_f64 v[48:49], s[24:25], v[36:37], v[26:27]
	s_mov_b32 s27, 0x3ec71de3
	s_mov_b32 s28, 0x19e83e5c
	v_fma_f64 v[48:49], v[36:37], v[48:49], s[26:27]
	s_mov_b32 s29, 0xbf2a01a0
	;; [unrolled: 3-line block ×3, first 2 shown]
	v_fma_f64 v[48:49], v[36:37], v[48:49], s[30:31]
	v_mul_f64 v[50:51], v[18:19], -v[36:37]
	v_mul_f64 v[52:53], v[20:21], 0.5
	v_fmac_f64_e32 v[52:53], v[50:51], v[48:49]
	v_fma_f64 v[20:21], v[36:37], v[52:53], -v[20:21]
	s_mov_b32 s35, 0xbfc55555
	s_mov_b32 s34, s22
	v_fmac_f64_e32 v[20:21], s[34:35], v[50:51]
	v_add_f64 v[18:19], v[18:19], -v[20:21]
	v_and_b32_e32 v20, 1, v29
	v_cmp_eq_u32_e32 vcc, 0, v20
	v_cndmask_b32_e32 v31, v38, v18, vcc
	v_cndmask_b32_e32 v18, v39, v19, vcc
	v_lshlrev_b32_e32 v19, 30, v29
	v_xor_b32_e32 v19, v19, v11
	v_and_b32_e32 v19, 0x80000000, v19
	v_xor_b32_e32 v29, v18, v19
	v_mul_f64 v[18:19], v[22:23], v[32:33]
	v_div_scale_f64 v[20:21], s[4:5], v[34:35], v[34:35], v[18:19]
	v_rcp_f64_e32 v[32:33], v[20:21]
	s_movk_i32 vcc_lo, 0x1f8
	v_cmp_class_f64_e64 s[4:5], v[10:11], vcc_lo
	v_cndmask_b32_e64 v10, 0, v31, s[4:5]
	v_fma_f64 v[36:37], -v[20:21], v[32:33], 1.0
	v_fmac_f64_e32 v[32:33], v[32:33], v[36:37]
	v_fma_f64 v[36:37], -v[20:21], v[32:33], 1.0
	v_fmac_f64_e32 v[32:33], v[32:33], v[36:37]
	v_div_scale_f64 v[36:37], vcc, v[18:19], v[34:35], v[18:19]
	v_mul_f64 v[38:39], v[36:37], v[32:33]
	v_fma_f64 v[20:21], -v[20:21], v[38:39], v[36:37]
	v_mov_b32_e32 v31, 0x7ff80000
	s_nop 0
	v_div_fmas_f64 v[20:21], v[20:21], v[32:33], v[38:39]
	v_div_fixup_f64 v[18:19], v[20:21], v[34:35], v[18:19]
	v_mov_b32_e32 v20, 0xddcfbbde
	v_mov_b32_e32 v21, 0x3f943525
	v_fmac_f64_e32 v[20:21], 0, v[22:23]
	v_mov_b32_e32 v32, 0x6437b7
	v_mov_b32_e32 v33, 0x3fd907d5
	v_fmac_f64_e32 v[32:33], v[22:23], v[20:21]
	;; [unrolled: 3-line block ×13, first 2 shown]
	v_mov_b32_e32 v32, 0x7ea7dc35
	v_mov_b32_e32 v33, 0x402f211b
	s_mov_b32 vcc_lo, 0
	v_fmac_f64_e32 v[32:33], v[22:23], v[34:35]
	v_mov_b32_e32 v34, 0x2b79dbce
	v_mov_b32_e32 v35, 0x4015e84e
	s_brev_b32 vcc_hi, 8
	v_fmac_f64_e32 v[34:35], v[22:23], v[32:33]
	v_mov_b32_e32 v32, 0xc195ece3
	v_mov_b32_e32 v33, 0x3fee8992
	v_cmp_gt_f64_e32 vcc, vcc, v[4:5]
	v_cndmask_b32_e64 v11, v31, v29, s[4:5]
	v_fmac_f64_e32 v[32:33], v[22:23], v[34:35]
	v_mov_b32_e32 v34, 0xed64a9ee
	v_mov_b32_e32 v35, 0x3fb6221d
	v_cndmask_b32_e64 v29, 0, 1, vcc
	v_fmac_f64_e32 v[34:35], v[22:23], v[32:33]
	v_mov_b32_e32 v32, 0x6be393bb
	v_mov_b32_e32 v33, 0x3f70e704
	v_lshlrev_b32_e32 v29, 8, v29
	v_fmac_f64_e32 v[32:33], v[22:23], v[34:35]
	v_mov_b32_e32 v34, 0xd603a5a0
	v_mov_b32_e32 v35, 0x3f1a8b61
	v_ldexp_f64 v[4:5], v[4:5], v29
	v_fmac_f64_e32 v[34:35], v[22:23], v[32:33]
	v_rsq_f64_e32 v[32:33], v[4:5]
	v_mov_b32_e32 v36, 0xdb0724e8
	v_mov_b32_e32 v37, 0x3eb3a845
	v_fmac_f64_e32 v[36:37], v[22:23], v[34:35]
	v_mul_f64 v[34:35], v[4:5], v[32:33]
	v_mul_f64 v[32:33], v[32:33], 0.5
	v_fma_f64 v[38:39], -v[32:33], v[34:35], 0.5
	v_fmac_f64_e32 v[34:35], v[34:35], v[38:39]
	v_fma_f64 v[48:49], -v[34:35], v[34:35], v[4:5]
	v_fmac_f64_e32 v[32:33], v[32:33], v[38:39]
	v_fmac_f64_e32 v[34:35], v[48:49], v[32:33]
	v_fma_f64 v[38:39], -v[34:35], v[34:35], v[4:5]
	v_mov_b32_e32 v29, 0xffffff80
	v_fmac_f64_e32 v[34:35], v[38:39], v[32:33]
	v_cndmask_b32_e32 v29, 0, v29, vcc
	v_ldexp_f64 v[32:33], v[34:35], v29
	v_mov_b32_e32 v29, 0x260
	v_cmp_class_f64_e32 vcc, v[4:5], v29
	s_mov_b32 s36, 0x50429b6d
	v_cndmask_b32_e32 v5, v33, v5, vcc
	v_cndmask_b32_e32 v4, v32, v4, vcc
	s_mov_b32 s37, 0x3fe20dd7
	v_div_scale_f64 v[32:33], vcc, v[4:5], v[4:5], s[36:37]
	v_rcp_f64_e32 v[34:35], v[32:33]
	v_mov_b32_e32 v38, 0x3dd589d4
	v_mov_b32_e32 v39, 0x3e351fc7
	v_fmac_f64_e32 v[38:39], v[22:23], v[36:37]
	v_fma_f64 v[22:23], -v[32:33], v[34:35], 1.0
	v_fmac_f64_e32 v[34:35], v[34:35], v[22:23]
	v_fma_f64 v[22:23], -v[32:33], v[34:35], 1.0
	v_fmac_f64_e32 v[34:35], v[34:35], v[22:23]
	v_div_scale_f64 v[22:23], vcc, s[36:37], v[4:5], s[36:37]
	v_mul_f64 v[36:37], v[22:23], v[34:35]
	v_fma_f64 v[22:23], -v[32:33], v[36:37], v[22:23]
	v_add_f64 v[18:19], v[18:19], 1.0
	s_nop 0
	v_div_fmas_f64 v[22:23], v[22:23], v[34:35], v[36:37]
	v_div_fixup_f64 v[4:5], v[22:23], v[4:5], s[36:37]
	v_mul_f64 v[22:23], v[12:13], v[12:13]
	v_mul_f64 v[32:33], v[22:23], 0.5
	v_fmac_f64_e32 v[24:25], s[14:15], v[22:23]
	v_add_f64 v[34:35], -v[32:33], 1.0
	v_fma_f64 v[24:25], v[22:23], v[24:25], s[16:17]
	v_add_f64 v[36:37], -v[34:35], 1.0
	v_fma_f64 v[24:25], v[22:23], v[24:25], s[18:19]
	v_add_f64 v[32:33], v[36:37], -v[32:33]
	v_fma_f64 v[24:25], v[22:23], v[24:25], s[20:21]
	v_fmac_f64_e32 v[26:27], s[24:25], v[22:23]
	v_mul_f64 v[36:37], v[22:23], v[22:23]
	v_fma_f64 v[24:25], v[22:23], v[24:25], s[22:23]
	v_fma_f64 v[32:33], v[12:13], -v[14:15], v[32:33]
	v_fma_f64 v[26:27], v[22:23], v[26:27], s[26:27]
	v_fmac_f64_e32 v[32:33], v[36:37], v[24:25]
	v_fma_f64 v[26:27], v[22:23], v[26:27], s[28:29]
	v_add_f64 v[24:25], v[34:35], v[32:33]
	v_fma_f64 v[26:27], v[22:23], v[26:27], s[30:31]
	v_mul_f64 v[32:33], v[12:13], -v[22:23]
	v_mul_f64 v[34:35], v[14:15], 0.5
	v_fmac_f64_e32 v[34:35], v[32:33], v[26:27]
	v_fma_f64 v[14:15], v[22:23], v[34:35], -v[14:15]
	v_fmac_f64_e32 v[14:15], s[34:35], v[32:33]
	v_add_f64 v[12:13], v[12:13], -v[14:15]
	v_and_b32_e32 v14, 1, v28
	v_cmp_eq_u32_e32 vcc, 0, v14
	v_xor_b32_e32 v13, 0x80000000, v13
	v_cndmask_b32_e32 v22, v12, v24, vcc
	v_lshlrev_b32_e32 v12, 30, v28
	v_cndmask_b32_e32 v23, v13, v25, vcc
	v_and_b32_e32 v24, 0x80000000, v12
	v_mul_f64 v[12:13], v[16:17], v[20:21]
	v_div_scale_f64 v[14:15], s[14:15], v[38:39], v[38:39], v[12:13]
	v_rcp_f64_e32 v[16:17], v[14:15]
	v_xor_b32_e32 v21, v23, v24
	v_cndmask_b32_e64 v20, 0, v22, s[4:5]
	v_cndmask_b32_e64 v21, v31, v21, s[4:5]
	v_fma_f64 v[22:23], -v[14:15], v[16:17], 1.0
	v_fmac_f64_e32 v[16:17], v[16:17], v[22:23]
	v_fma_f64 v[22:23], -v[14:15], v[16:17], 1.0
	v_fmac_f64_e32 v[16:17], v[16:17], v[22:23]
	v_div_scale_f64 v[22:23], vcc, v[12:13], v[38:39], v[12:13]
	v_mul_f64 v[24:25], v[22:23], v[16:17]
	v_fma_f64 v[14:15], -v[14:15], v[24:25], v[22:23]
	s_nop 1
	v_div_fmas_f64 v[14:15], v[14:15], v[16:17], v[24:25]
	v_div_fixup_f64 v[12:13], v[14:15], v[38:39], v[12:13]
	v_mul_f64 v[12:13], v[12:13], v[20:21]
	v_fma_f64 v[10:11], v[18:19], v[10:11], -v[12:13]
	v_mul_f64 v[4:5], v[4:5], v[10:11]
.LBB1_42:
	s_or_b64 exec, exec, s[12:13]
.LBB1_43:
	s_or_b64 exec, exec, s[10:11]
.LBB1_44:
	s_or_b64 exec, exec, s[8:9]
	s_mov_b32 s8, 0
	v_mov_b32_e32 v12, 0
	s_mov_b32 s9, 0x7ff00000
	v_mov_b32_e32 v13, 0x7ff80000
	v_cmp_neq_f64_e64 s[4:5], |v[6:7]|, s[8:9]
	v_pk_mov_b32 v[10:11], v[12:13], v[12:13] op_sel:[0,1]
	s_and_saveexec_b64 s[10:11], s[4:5]
	s_cbranch_execz .LBB1_66
; %bb.45:
	s_mov_b32 s4, 0x872b020c
	s_mov_b32 s5, 0x4059f916
	v_cmp_nlt_f64_e32 vcc, s[4:5], v[6:7]
	v_pk_mov_b32 v[10:11], 0, 0
	s_and_saveexec_b64 s[12:13], vcc
	s_cbranch_execz .LBB1_65
; %bb.46:
	s_mov_b32 s5, 0xc000b851
	s_mov_b32 s4, 0xeb851eb8
	v_cmp_ngt_f64_e32 vcc, s[4:5], v[6:7]
	s_and_saveexec_b64 s[14:15], vcc
	s_xor_b64 s[14:15], exec, s[14:15]
	s_cbranch_execz .LBB1_54
; %bb.47:
	s_mov_b32 s5, 0x4000b851
	v_cmp_nle_f64_e64 s[16:17], s[4:5], v[6:7]
	v_cmp_le_f64_e32 vcc, s[4:5], v[6:7]
	v_pk_mov_b32 v[10:11], 0, 0
	s_mov_b64 s[4:5], s[16:17]
	s_and_saveexec_b64 s[18:19], vcc
	s_cbranch_execz .LBB1_49
; %bb.48:
	s_mov_b32 s4, 0
	s_brev_b32 s5, 8
	v_cmp_gt_f64_e32 vcc, s[4:5], v[6:7]
	v_cndmask_b32_e64 v10, 0, 1, vcc
	v_lshlrev_b32_e32 v10, 8, v10
	v_ldexp_f64 v[10:11], v[6:7], v10
	v_rsq_f64_e32 v[14:15], v[10:11]
	v_mov_b32_e32 v28, 0xffffff80
	v_mov_b32_e32 v29, 0x260
	v_add_f64 v[16:17], v[6:7], v[6:7]
	v_mul_f64 v[18:19], v[10:11], v[14:15]
	v_mul_f64 v[14:15], v[14:15], 0.5
	v_fma_f64 v[20:21], -v[14:15], v[18:19], 0.5
	v_fmac_f64_e32 v[18:19], v[18:19], v[20:21]
	v_fma_f64 v[22:23], -v[18:19], v[18:19], v[10:11]
	v_fmac_f64_e32 v[14:15], v[14:15], v[20:21]
	v_fmac_f64_e32 v[18:19], v[22:23], v[14:15]
	v_fma_f64 v[20:21], -v[18:19], v[18:19], v[10:11]
	v_fmac_f64_e32 v[18:19], v[20:21], v[14:15]
	v_cndmask_b32_e32 v14, 0, v28, vcc
	v_ldexp_f64 v[14:15], v[18:19], v14
	v_cmp_class_f64_e32 vcc, v[10:11], v29
	v_cndmask_b32_e32 v11, v15, v11, vcc
	v_cndmask_b32_e32 v10, v14, v10, vcc
	s_mov_b32 s20, 0
	v_mul_f64 v[14:15], v[16:17], v[10:11]
	s_mov_b32 s21, 0x40080000
	v_div_scale_f64 v[16:17], s[22:23], s[20:21], s[20:21], v[14:15]
	v_rcp_f64_e32 v[18:19], v[16:17]
	v_fma_f64 v[20:21], -v[16:17], v[18:19], 1.0
	v_fmac_f64_e32 v[18:19], v[18:19], v[20:21]
	v_fma_f64 v[20:21], -v[16:17], v[18:19], 1.0
	v_fmac_f64_e32 v[18:19], v[18:19], v[20:21]
	v_div_scale_f64 v[20:21], vcc, v[14:15], s[20:21], v[14:15]
	v_mul_f64 v[22:23], v[20:21], v[18:19]
	v_fma_f64 v[16:17], -v[16:17], v[22:23], v[20:21]
	s_nop 1
	v_div_fmas_f64 v[16:17], v[16:17], v[18:19], v[22:23]
	v_div_fixup_f64 v[14:15], v[16:17], s[20:21], v[14:15]
	v_div_scale_f64 v[16:17], s[20:21], v[14:15], v[14:15], 1.0
	v_rcp_f64_e32 v[18:19], v[16:17]
	v_fma_f64 v[20:21], -v[16:17], v[18:19], 1.0
	v_fmac_f64_e32 v[18:19], v[18:19], v[20:21]
	v_fma_f64 v[20:21], -v[16:17], v[18:19], 1.0
	v_fmac_f64_e32 v[18:19], v[18:19], v[20:21]
	v_div_scale_f64 v[20:21], vcc, 1.0, v[14:15], 1.0
	v_mul_f64 v[22:23], v[20:21], v[18:19]
	v_fma_f64 v[16:17], -v[16:17], v[22:23], v[20:21]
	v_mov_b32_e32 v20, 0x871a9067
	s_nop 0
	v_div_fmas_f64 v[16:17], v[16:17], v[18:19], v[22:23]
	v_div_fixup_f64 v[16:17], v[16:17], v[14:15], 1.0
	v_mov_b32_e32 v18, 0x2537b658
	v_mov_b32_e32 v19, 0x3fd62dae
	v_fmac_f64_e32 v[18:19], 0, v[16:17]
	v_mov_b32_e32 v21, 0x402803e3
	v_fmac_f64_e32 v[20:21], v[16:17], v[18:19]
	v_mov_b32_e32 v18, 0xde2e1e3
	v_mov_b32_e32 v19, 0x405311e5
	v_fmac_f64_e32 v[18:19], v[16:17], v[20:21]
	v_mov_b32_e32 v20, 0xee40073c
	;; [unrolled: 3-line block ×12, first 2 shown]
	v_mov_b32_e32 v21, 0x402c311b
	v_fmac_f64_e32 v[20:21], v[16:17], v[22:23]
	v_fma_f64 v[20:21], v[16:17], v[20:21], 1.0
	v_fma_f64 v[16:17], v[16:17], v[18:19], 1.0
	v_div_scale_f64 v[18:19], s[20:21], v[20:21], v[20:21], v[16:17]
	v_rcp_f64_e32 v[22:23], v[18:19]
	v_fma_f64 v[24:25], -v[18:19], v[22:23], 1.0
	v_fmac_f64_e32 v[22:23], v[22:23], v[24:25]
	v_fma_f64 v[24:25], -v[18:19], v[22:23], 1.0
	v_fmac_f64_e32 v[22:23], v[22:23], v[24:25]
	v_div_scale_f64 v[24:25], vcc, v[16:17], v[20:21], v[16:17]
	v_mul_f64 v[26:27], v[24:25], v[22:23]
	v_fma_f64 v[18:19], -v[18:19], v[26:27], v[24:25]
	s_nop 1
	v_div_fmas_f64 v[18:19], v[18:19], v[22:23], v[26:27]
	v_cmp_gt_f64_e32 vcc, s[4:5], v[10:11]
	v_div_fixup_f64 v[16:17], v[18:19], v[20:21], v[16:17]
	v_cndmask_b32_e64 v18, 0, 1, vcc
	v_lshlrev_b32_e32 v18, 8, v18
	v_ldexp_f64 v[10:11], v[10:11], v18
	v_rsq_f64_e32 v[18:19], v[10:11]
	s_mov_b32 s4, 0x50429b6d
	s_mov_b32 s5, 0x3fe20dd7
	v_mul_f64 v[16:17], v[16:17], s[4:5]
	v_mul_f64 v[20:21], v[10:11], v[18:19]
	v_mul_f64 v[18:19], v[18:19], 0.5
	v_fma_f64 v[22:23], -v[18:19], v[20:21], 0.5
	v_fmac_f64_e32 v[20:21], v[20:21], v[22:23]
	v_fma_f64 v[24:25], -v[20:21], v[20:21], v[10:11]
	v_fmac_f64_e32 v[18:19], v[18:19], v[22:23]
	v_fmac_f64_e32 v[20:21], v[24:25], v[18:19]
	v_fma_f64 v[22:23], -v[20:21], v[20:21], v[10:11]
	v_fmac_f64_e32 v[20:21], v[22:23], v[18:19]
	v_cndmask_b32_e32 v18, 0, v28, vcc
	s_mov_b32 s4, 0x652b82fe
	v_ldexp_f64 v[18:19], v[20:21], v18
	v_cmp_class_f64_e32 vcc, v[10:11], v29
	s_mov_b32 s5, 0x3ff71547
	v_cndmask_b32_e32 v11, v19, v11, vcc
	v_cndmask_b32_e32 v10, v18, v10, vcc
	v_mul_f64 v[18:19], v[14:15], s[4:5]
	s_mov_b32 s4, 0xfefa39ef
	v_rndne_f64_e32 v[18:19], v[18:19]
	s_mov_b32 s5, 0xbfe62e42
	v_fma_f64 v[20:21], s[4:5], v[18:19], v[14:15]
	s_mov_b32 s4, 0x3b39803f
	s_mov_b32 s5, 0xbc7abc9e
	v_fmac_f64_e32 v[20:21], s[4:5], v[18:19]
	s_mov_b32 s4, 0x6a5dcb37
	v_mov_b32_e32 v22, 0xfca7ab0c
	v_mov_b32_e32 v23, 0x3e928af3
	s_mov_b32 s5, 0x3e5ade15
	v_fmac_f64_e32 v[22:23], s[4:5], v[20:21]
	v_mov_b32_e32 v24, 0x623fde64
	v_mov_b32_e32 v25, 0x3ec71dee
	v_fmac_f64_e32 v[24:25], v[20:21], v[22:23]
	v_mov_b32_e32 v22, 0x7c89e6b0
	v_mov_b32_e32 v23, 0x3efa0199
	;; [unrolled: 3-line block ×8, first 2 shown]
	s_mov_b32 s4, 0
	v_fmac_f64_e32 v[22:23], v[20:21], v[24:25]
	s_mov_b32 s5, 0x40900000
	v_fma_f64 v[22:23], v[20:21], v[22:23], 1.0
	v_cmp_nlt_f64_e32 vcc, s[4:5], v[14:15]
	s_mov_b32 s4, 0
	v_fma_f64 v[20:21], v[20:21], v[22:23], 1.0
	v_cvt_i32_f64_e32 v18, v[18:19]
	s_mov_b32 s5, 0xc090cc00
	v_ldexp_f64 v[18:19], v[20:21], v18
	v_mov_b32_e32 v20, 0x7ff00000
	v_cmp_ngt_f64_e64 s[4:5], s[4:5], v[14:15]
	v_cndmask_b32_e32 v19, v20, v19, vcc
	s_and_b64 vcc, s[4:5], vcc
	v_add_f64 v[10:11], v[10:11], v[10:11]
	v_cndmask_b32_e64 v15, 0, v19, s[4:5]
	v_cndmask_b32_e32 v14, 0, v18, vcc
	v_mul_f64 v[10:11], v[10:11], v[14:15]
	v_div_scale_f64 v[14:15], s[4:5], v[10:11], v[10:11], v[16:17]
	v_rcp_f64_e32 v[18:19], v[14:15]
	s_mov_b32 s4, 0xfd0a823a
	s_mov_b32 s5, 0x4020a402
	v_fma_f64 v[20:21], -v[14:15], v[18:19], 1.0
	v_fmac_f64_e32 v[18:19], v[18:19], v[20:21]
	v_fma_f64 v[20:21], -v[14:15], v[18:19], 1.0
	v_fmac_f64_e32 v[18:19], v[18:19], v[20:21]
	v_div_scale_f64 v[20:21], vcc, v[16:17], v[10:11], v[16:17]
	v_mul_f64 v[22:23], v[20:21], v[18:19]
	v_fma_f64 v[14:15], -v[14:15], v[22:23], v[20:21]
	s_nop 1
	v_div_fmas_f64 v[14:15], v[14:15], v[18:19], v[22:23]
	v_cmp_nlt_f64_e32 vcc, s[4:5], v[6:7]
	s_andn2_b64 s[4:5], s[16:17], exec
	s_and_b64 s[20:21], vcc, exec
	v_div_fixup_f64 v[10:11], v[14:15], v[10:11], v[16:17]
	s_or_b64 s[4:5], s[4:5], s[20:21]
.LBB1_49:
	s_or_b64 exec, exec, s[18:19]
	s_and_saveexec_b64 s[18:19], s[4:5]
	s_cbranch_execz .LBB1_53
; %bb.50:
	v_mov_b32_e32 v22, 0
	v_mul_f64 v[14:15], v[6:7], v[6:7]
	v_mov_b32_e32 v23, 0x3ff00000
	s_mov_b32 s22, 0
	v_mul_f64 v[16:17], v[6:7], v[14:15]
	s_mov_b64 s[20:21], 0
	s_mov_b32 s23, 0x3cb00000
	v_pk_mov_b32 v[20:21], v[22:23], v[22:23] op_sel:[0,1]
	v_pk_mov_b32 v[18:19], v[6:7], v[6:7] op_sel:[0,1]
	;; [unrolled: 1-line block ×3, first 2 shown]
.LBB1_51:                               ; =>This Inner Loop Header: Depth=1
	v_mul_f64 v[22:23], v[16:17], v[22:23]
	v_add_f64 v[24:25], v[20:21], 1.0
	v_mul_f64 v[6:7], v[16:17], v[6:7]
	v_div_scale_f64 v[26:27], s[4:5], v[24:25], v[24:25], v[22:23]
	v_add_f64 v[32:33], v[24:25], 1.0
	v_rcp_f64_e32 v[34:35], v[26:27]
	v_div_scale_f64 v[36:37], s[4:5], v[32:33], v[32:33], v[6:7]
	v_rcp_f64_e32 v[48:49], v[36:37]
	v_fma_f64 v[50:51], -v[26:27], v[34:35], 1.0
	v_fmac_f64_e32 v[34:35], v[34:35], v[50:51]
	v_fma_f64 v[52:53], -v[26:27], v[34:35], 1.0
	v_fma_f64 v[50:51], -v[36:37], v[48:49], 1.0
	v_fmac_f64_e32 v[48:49], v[48:49], v[50:51]
	v_div_scale_f64 v[28:29], vcc, v[22:23], v[24:25], v[22:23]
	v_fmac_f64_e32 v[34:35], v[34:35], v[52:53]
	v_fma_f64 v[50:51], -v[36:37], v[48:49], 1.0
	v_div_scale_f64 v[38:39], s[4:5], v[6:7], v[32:33], v[6:7]
	v_mul_f64 v[52:53], v[28:29], v[34:35]
	v_fmac_f64_e32 v[48:49], v[48:49], v[50:51]
	v_fma_f64 v[26:27], -v[26:27], v[52:53], v[28:29]
	v_mul_f64 v[28:29], v[38:39], v[48:49]
	v_div_fmas_f64 v[26:27], v[26:27], v[34:35], v[52:53]
	v_fma_f64 v[34:35], -v[36:37], v[28:29], v[38:39]
	s_mov_b64 vcc, s[4:5]
	v_div_fixup_f64 v[22:23], v[26:27], v[24:25], v[22:23]
	v_div_fmas_f64 v[24:25], v[34:35], v[48:49], v[28:29]
	v_div_fixup_f64 v[6:7], v[24:25], v[32:33], v[6:7]
	v_div_scale_f64 v[24:25], s[4:5], v[32:33], v[32:33], v[22:23]
	v_add_f64 v[20:21], v[32:33], 1.0
	v_rcp_f64_e32 v[28:29], v[24:25]
	v_div_scale_f64 v[34:35], s[4:5], v[20:21], v[20:21], v[6:7]
	v_rcp_f64_e32 v[38:39], v[34:35]
	v_fma_f64 v[48:49], -v[24:25], v[28:29], 1.0
	v_fmac_f64_e32 v[28:29], v[28:29], v[48:49]
	v_fma_f64 v[50:51], -v[24:25], v[28:29], 1.0
	v_fma_f64 v[48:49], -v[34:35], v[38:39], 1.0
	v_div_scale_f64 v[26:27], vcc, v[22:23], v[32:33], v[22:23]
	v_fmac_f64_e32 v[38:39], v[38:39], v[48:49]
	v_fmac_f64_e32 v[28:29], v[28:29], v[50:51]
	v_fma_f64 v[48:49], -v[34:35], v[38:39], 1.0
	v_mul_f64 v[50:51], v[26:27], v[28:29]
	v_div_scale_f64 v[36:37], s[4:5], v[6:7], v[20:21], v[6:7]
	v_fmac_f64_e32 v[38:39], v[38:39], v[48:49]
	v_fma_f64 v[24:25], -v[24:25], v[50:51], v[26:27]
	v_mul_f64 v[26:27], v[36:37], v[38:39]
	v_div_fmas_f64 v[24:25], v[24:25], v[28:29], v[50:51]
	v_fma_f64 v[28:29], -v[34:35], v[26:27], v[36:37]
	v_div_fixup_f64 v[22:23], v[24:25], v[32:33], v[22:23]
	s_mov_b64 vcc, s[4:5]
	v_div_fmas_f64 v[24:25], v[28:29], v[38:39], v[26:27]
	v_add_f64 v[14:15], v[14:15], v[22:23]
	v_div_fixup_f64 v[6:7], v[24:25], v[20:21], v[6:7]
	v_div_scale_f64 v[24:25], s[4:5], v[14:15], v[14:15], v[22:23]
	v_rcp_f64_e32 v[26:27], v[24:25]
	v_div_scale_f64 v[28:29], vcc, v[22:23], v[14:15], v[22:23]
	v_add_f64 v[18:19], v[18:19], v[6:7]
	v_fma_f64 v[32:33], -v[24:25], v[26:27], 1.0
	v_fmac_f64_e32 v[26:27], v[26:27], v[32:33]
	v_fma_f64 v[32:33], -v[24:25], v[26:27], 1.0
	v_fmac_f64_e32 v[26:27], v[26:27], v[32:33]
	v_mul_f64 v[32:33], v[28:29], v[26:27]
	v_fma_f64 v[24:25], -v[24:25], v[32:33], v[28:29]
	v_div_fmas_f64 v[24:25], v[24:25], v[26:27], v[32:33]
	v_div_fixup_f64 v[24:25], v[24:25], v[14:15], v[22:23]
	v_cmp_ngt_f64_e64 s[4:5], |v[24:25]|, s[22:23]
	s_or_b64 s[20:21], s[4:5], s[20:21]
	s_andn2_b64 exec, exec, s[20:21]
	s_cbranch_execnz .LBB1_51
; %bb.52:
	s_or_b64 exec, exec, s[20:21]
	s_mov_b32 s4, 0x42b70f8b
	s_mov_b32 s5, 0xbfd0907f
	v_mul_f64 v[16:17], v[18:19], s[4:5]
	s_mov_b32 s4, 0x962715b8
	s_mov_b32 s5, 0x3fd6b8c7
	v_fmac_f64_e32 v[16:17], s[4:5], v[14:15]
	v_cndmask_b32_e64 v11, v11, v17, s[16:17]
	v_cndmask_b32_e64 v10, v10, v16, s[16:17]
.LBB1_53:
	s_or_b64 exec, exec, s[18:19]
.LBB1_54:
	s_andn2_saveexec_b64 s[14:15], s[14:15]
	s_cbranch_execz .LBB1_64
; %bb.55:
	s_mov_b32 s4, 0
	s_brev_b32 s5, 9
	v_cmp_lt_f64_e32 vcc, s[4:5], v[6:7]
	v_cndmask_b32_e64 v10, 0, 1, vcc
	v_lshlrev_b32_e32 v10, 8, v10
	v_ldexp_f64 v[10:11], -v[6:7], v10
	v_rsq_f64_e32 v[14:15], v[10:11]
	v_mul_f64 v[16:17], v[6:7], -2.0
	s_mov_b32 s16, 0
	s_mov_b32 s17, 0x40080000
	v_mul_f64 v[6:7], v[10:11], v[14:15]
	v_mul_f64 v[14:15], v[14:15], 0.5
	v_fma_f64 v[18:19], -v[14:15], v[6:7], 0.5
	v_fmac_f64_e32 v[6:7], v[6:7], v[18:19]
	v_fma_f64 v[20:21], -v[6:7], v[6:7], v[10:11]
	v_fmac_f64_e32 v[14:15], v[14:15], v[18:19]
	v_fmac_f64_e32 v[6:7], v[20:21], v[14:15]
	v_fma_f64 v[18:19], -v[6:7], v[6:7], v[10:11]
	v_fmac_f64_e32 v[6:7], v[18:19], v[14:15]
	v_mov_b32_e32 v14, 0xffffff80
	v_cndmask_b32_e32 v14, 0, v14, vcc
	v_ldexp_f64 v[6:7], v[6:7], v14
	v_mov_b32_e32 v14, 0x260
	v_cmp_class_f64_e32 vcc, v[10:11], v14
	v_cndmask_b32_e32 v7, v7, v11, vcc
	v_cndmask_b32_e32 v6, v6, v10, vcc
	v_mul_f64 v[10:11], v[16:17], v[6:7]
	v_div_scale_f64 v[14:15], s[4:5], s[16:17], s[16:17], v[10:11]
	v_rcp_f64_e32 v[16:17], v[14:15]
	s_mov_b32 s19, 0x3fe921fb
	s_mov_b32 s18, 0x54442d18
	s_movk_i32 s4, 0xff80
	v_fma_f64 v[18:19], -v[14:15], v[16:17], 1.0
	v_fmac_f64_e32 v[16:17], v[16:17], v[18:19]
	v_fma_f64 v[18:19], -v[14:15], v[16:17], 1.0
	v_fmac_f64_e32 v[16:17], v[16:17], v[18:19]
	v_div_scale_f64 v[18:19], vcc, v[10:11], s[16:17], v[10:11]
	v_mul_f64 v[20:21], v[18:19], v[16:17]
	v_fma_f64 v[14:15], -v[14:15], v[20:21], v[18:19]
                                        ; implicit-def: $vgpr32
                                        ; implicit-def: $vgpr22_vgpr23
	s_nop 1
	v_div_fmas_f64 v[14:15], v[14:15], v[16:17], v[20:21]
	v_div_fixup_f64 v[18:19], v[14:15], s[16:17], v[10:11]
	s_mov_b32 s16, 0
	v_add_f64 v[10:11], v[18:19], s[18:19]
	s_mov_b32 s17, 0x41d00000
	v_cmp_nlt_f64_e64 s[16:17], |v[10:11]|, s[16:17]
	v_trig_preop_f64 v[28:29], |v[10:11]|, 0
	v_trig_preop_f64 v[26:27], |v[10:11]|, 1
	v_trig_preop_f64 v[24:25], |v[10:11]|, 2
                                        ; implicit-def: $vgpr20_vgpr21
	s_and_saveexec_b64 s[20:21], s[16:17]
	s_xor_b64 s[20:21], exec, s[20:21]
	s_cbranch_execz .LBB1_57
; %bb.56:
	s_mov_b32 s22, 0
	s_mov_b32 s23, 0x7b000000
	v_and_b32_e32 v16, 0x7fffffff, v11
	v_ldexp_f64 v[14:15], |v[10:11]|, s4
	v_cmp_ge_f64_e64 vcc, |v[10:11]|, s[22:23]
	v_cndmask_b32_e32 v15, v16, v15, vcc
	v_cndmask_b32_e32 v14, v10, v14, vcc
	v_mul_f64 v[20:21], v[28:29], v[14:15]
	v_mul_f64 v[16:17], v[26:27], v[14:15]
	v_fma_f64 v[22:23], v[28:29], v[14:15], -v[20:21]
	v_add_f64 v[32:33], v[16:17], v[22:23]
	v_add_f64 v[34:35], v[20:21], v[32:33]
	s_mov_b32 s4, 0
	v_ldexp_f64 v[36:37], v[34:35], -2
	s_mov_b32 s5, 0x7ff00000
	v_fract_f64_e32 v[38:39], v[36:37]
	v_cmp_neq_f64_e64 vcc, |v[36:37]|, s[4:5]
	v_cndmask_b32_e32 v37, 0, v39, vcc
	v_cndmask_b32_e32 v36, 0, v38, vcc
	v_add_f64 v[38:39], v[32:33], -v[16:17]
	v_add_f64 v[22:23], v[22:23], -v[38:39]
	;; [unrolled: 1-line block ×4, first 2 shown]
	v_add_f64 v[22:23], v[22:23], v[38:39]
	v_fma_f64 v[16:17], v[26:27], v[14:15], -v[16:17]
	v_mul_f64 v[38:39], v[24:25], v[14:15]
	v_add_f64 v[50:51], v[38:39], v[16:17]
	v_add_f64 v[52:53], v[50:51], v[22:23]
	v_add_f64 v[20:21], v[34:35], -v[20:21]
	v_add_f64 v[34:35], v[52:53], -v[50:51]
	;; [unrolled: 1-line block ×5, first 2 shown]
	v_add_f64 v[22:23], v[22:23], v[34:35]
	v_add_f64 v[34:35], v[50:51], -v[38:39]
	v_add_f64 v[16:17], v[16:17], -v[34:35]
	;; [unrolled: 1-line block ×5, first 2 shown]
	v_add_f64 v[32:33], v[20:21], v[52:53]
	v_add_f64 v[16:17], v[16:17], v[34:35]
	v_add_f64 v[20:21], v[32:33], -v[20:21]
	v_add_f64 v[16:17], v[16:17], v[22:23]
	v_fma_f64 v[14:15], v[24:25], v[14:15], -v[38:39]
	v_add_f64 v[20:21], v[52:53], -v[20:21]
	v_add_f64 v[14:15], v[14:15], v[16:17]
	v_ldexp_f64 v[16:17], v[36:37], 2
	v_add_f64 v[14:15], v[20:21], v[14:15]
	v_add_f64 v[20:21], v[32:33], v[16:17]
	v_mov_b32_e32 v22, 0x40100000
	v_cmp_gt_f64_e32 vcc, 0, v[20:21]
	v_mov_b32_e32 v48, 0
	v_cndmask_b32_e32 v49, 0, v22, vcc
	v_add_f64 v[16:17], v[16:17], v[48:49]
	v_add_f64 v[20:21], v[32:33], v[16:17]
	v_cvt_i32_f64_e32 v22, v[20:21]
	v_cvt_f64_i32_e32 v[20:21], v22
	v_add_f64 v[16:17], v[16:17], -v[20:21]
	v_add_f64 v[20:21], v[32:33], v[16:17]
	v_add_f64 v[16:17], v[20:21], -v[16:17]
	v_add_f64 v[16:17], v[32:33], -v[16:17]
	v_add_f64 v[14:15], v[14:15], v[16:17]
	v_cmp_le_f64_e32 vcc, 0.5, v[20:21]
	v_mov_b32_e32 v16, 0x3ff00000
	v_cndmask_b32_e32 v49, 0, v16, vcc
	v_add_f64 v[16:17], v[20:21], -v[48:49]
	v_add_f64 v[20:21], v[16:17], v[14:15]
	v_addc_co_u32_e64 v32, s[4:5], 0, v22, vcc
	v_add_f64 v[16:17], v[20:21], -v[16:17]
	s_mov_b32 s19, 0x3ff921fb
	v_add_f64 v[14:15], v[14:15], -v[16:17]
	v_mul_f64 v[16:17], v[20:21], s[18:19]
	s_mov_b32 s4, 0x33145c07
	v_fma_f64 v[22:23], v[20:21], s[18:19], -v[16:17]
	s_mov_b32 s5, 0x3c91a626
	v_fmac_f64_e32 v[22:23], s[4:5], v[20:21]
	v_fmac_f64_e32 v[22:23], s[18:19], v[14:15]
	v_add_f64 v[20:21], v[16:17], v[22:23]
	v_add_f64 v[14:15], v[20:21], -v[16:17]
	v_add_f64 v[22:23], v[22:23], -v[14:15]
	s_andn2_saveexec_b64 s[4:5], s[20:21]
	s_cbranch_execz .LBB1_59
	s_branch .LBB1_58
.LBB1_57:
	s_andn2_saveexec_b64 s[4:5], s[20:21]
	s_cbranch_execz .LBB1_59
.LBB1_58:
	s_mov_b32 s18, 0x6dc9c883
	s_mov_b32 s19, 0x3fe45f30
	v_mul_f64 v[14:15], |v[10:11]|, s[18:19]
	s_mov_b32 s18, 0x54442d18
	v_rndne_f64_e32 v[14:15], v[14:15]
	s_mov_b32 s19, 0xbff921fb
	v_fma_f64 v[16:17], v[14:15], s[18:19], |v[10:11]|
	s_mov_b32 s19, 0xbc91a626
	s_mov_b32 s18, 0x33145c00
	v_mul_f64 v[20:21], v[14:15], s[18:19]
	v_add_f64 v[34:35], v[16:17], v[20:21]
	v_fma_f64 v[22:23], s[18:19], v[14:15], v[16:17]
	s_mov_b32 s19, 0x3c91a626
	v_add_f64 v[16:17], v[16:17], -v[34:35]
	v_fma_f64 v[32:33], s[18:19], v[14:15], v[20:21]
	v_add_f64 v[16:17], v[16:17], v[20:21]
	v_add_f64 v[20:21], v[34:35], -v[22:23]
	v_add_f64 v[16:17], v[20:21], v[16:17]
	s_mov_b32 s18, 0x252049c0
	v_add_f64 v[16:17], v[16:17], -v[32:33]
	s_mov_b32 s19, 0xb97b839a
	v_fmac_f64_e32 v[16:17], s[18:19], v[14:15]
	v_add_f64 v[20:21], v[22:23], v[16:17]
	v_add_f64 v[22:23], v[20:21], -v[22:23]
	v_add_f64 v[22:23], v[16:17], -v[22:23]
	v_cvt_i32_f64_e32 v32, v[14:15]
.LBB1_59:
	s_or_b64 exec, exec, s[4:5]
                                        ; implicit-def: $vgpr31
                                        ; implicit-def: $vgpr14_vgpr15
                                        ; implicit-def: $vgpr16_vgpr17
	s_and_saveexec_b64 s[4:5], s[16:17]
	s_xor_b64 s[16:17], exec, s[4:5]
	s_cbranch_execz .LBB1_61
; %bb.60:
	s_mov_b32 s4, 0
	s_mov_b32 s5, 0x7b000000
	s_movk_i32 s18, 0xff80
	v_and_b32_e32 v16, 0x7fffffff, v11
	v_ldexp_f64 v[14:15], |v[10:11]|, s18
	v_cmp_ge_f64_e64 vcc, |v[10:11]|, s[4:5]
	v_cndmask_b32_e32 v15, v16, v15, vcc
	v_cndmask_b32_e32 v14, v10, v14, vcc
	v_mul_f64 v[34:35], v[28:29], v[14:15]
	v_mul_f64 v[16:17], v[26:27], v[14:15]
	v_fma_f64 v[28:29], v[28:29], v[14:15], -v[34:35]
	v_add_f64 v[36:37], v[16:17], v[28:29]
	v_add_f64 v[38:39], v[34:35], v[36:37]
	s_mov_b32 s4, 0
	v_ldexp_f64 v[48:49], v[38:39], -2
	s_mov_b32 s5, 0x7ff00000
	v_fract_f64_e32 v[50:51], v[48:49]
	v_cmp_neq_f64_e64 vcc, |v[48:49]|, s[4:5]
	v_cndmask_b32_e32 v49, 0, v51, vcc
	v_cndmask_b32_e32 v48, 0, v50, vcc
	v_add_f64 v[50:51], v[36:37], -v[16:17]
	v_add_f64 v[28:29], v[28:29], -v[50:51]
	;; [unrolled: 1-line block ×4, first 2 shown]
	v_fma_f64 v[16:17], v[26:27], v[14:15], -v[16:17]
	v_mul_f64 v[26:27], v[24:25], v[14:15]
	v_add_f64 v[28:29], v[28:29], v[50:51]
	v_add_f64 v[50:51], v[26:27], v[16:17]
	;; [unrolled: 1-line block ×3, first 2 shown]
	v_add_f64 v[34:35], v[38:39], -v[34:35]
	v_add_f64 v[38:39], v[54:55], -v[50:51]
	;; [unrolled: 1-line block ×5, first 2 shown]
	v_add_f64 v[28:29], v[28:29], v[38:39]
	v_add_f64 v[38:39], v[50:51], -v[26:27]
	v_add_f64 v[16:17], v[16:17], -v[38:39]
	v_add_f64 v[38:39], v[50:51], -v[38:39]
	v_add_f64 v[38:39], v[26:27], -v[38:39]
	v_add_f64 v[16:17], v[16:17], v[38:39]
	v_add_f64 v[34:35], v[36:37], -v[34:35]
	v_add_f64 v[16:17], v[16:17], v[28:29]
	v_fma_f64 v[14:15], v[24:25], v[14:15], -v[26:27]
	v_add_f64 v[36:37], v[34:35], v[54:55]
	v_add_f64 v[14:15], v[14:15], v[16:17]
	v_ldexp_f64 v[16:17], v[48:49], 2
	v_add_f64 v[24:25], v[36:37], v[16:17]
	v_mov_b32_e32 v26, 0x40100000
	v_cmp_gt_f64_e32 vcc, 0, v[24:25]
	v_mov_b32_e32 v52, 0
	v_cndmask_b32_e32 v53, 0, v26, vcc
	v_add_f64 v[16:17], v[16:17], v[52:53]
	v_add_f64 v[24:25], v[36:37], v[16:17]
	v_cvt_i32_f64_e32 v26, v[24:25]
	v_cvt_f64_i32_e32 v[24:25], v26
	v_add_f64 v[16:17], v[16:17], -v[24:25]
	v_add_f64 v[34:35], v[36:37], -v[34:35]
	v_add_f64 v[24:25], v[36:37], v[16:17]
	v_add_f64 v[34:35], v[54:55], -v[34:35]
	v_add_f64 v[16:17], v[24:25], -v[16:17]
	v_add_f64 v[14:15], v[34:35], v[14:15]
	v_add_f64 v[16:17], v[36:37], -v[16:17]
	v_add_f64 v[14:15], v[14:15], v[16:17]
	v_cmp_le_f64_e32 vcc, 0.5, v[24:25]
	v_mov_b32_e32 v16, 0x3ff00000
	v_cndmask_b32_e32 v53, 0, v16, vcc
	v_addc_co_u32_e64 v31, s[4:5], 0, v26, vcc
	v_add_f64 v[16:17], v[24:25], -v[52:53]
	v_add_f64 v[24:25], v[16:17], v[14:15]
	s_mov_b32 s4, 0x54442d18
	v_add_f64 v[16:17], v[24:25], -v[16:17]
	s_mov_b32 s5, 0x3ff921fb
	v_add_f64 v[14:15], v[14:15], -v[16:17]
	v_mul_f64 v[16:17], v[24:25], s[4:5]
	s_mov_b32 s18, 0x33145c07
	v_fma_f64 v[26:27], v[24:25], s[4:5], -v[16:17]
	s_mov_b32 s19, 0x3c91a626
	v_fmac_f64_e32 v[26:27], s[18:19], v[24:25]
	v_fmac_f64_e32 v[26:27], s[4:5], v[14:15]
	v_add_f64 v[14:15], v[16:17], v[26:27]
	v_add_f64 v[16:17], v[14:15], -v[16:17]
	v_add_f64 v[16:17], v[26:27], -v[16:17]
	s_andn2_saveexec_b64 s[4:5], s[16:17]
	s_cbranch_execnz .LBB1_62
	s_branch .LBB1_63
.LBB1_61:
	s_andn2_saveexec_b64 s[4:5], s[16:17]
	s_cbranch_execz .LBB1_63
.LBB1_62:
	s_mov_b32 s16, 0x6dc9c883
	s_mov_b32 s17, 0x3fe45f30
	v_mul_f64 v[14:15], |v[10:11]|, s[16:17]
	s_mov_b32 s16, 0x54442d18
	v_rndne_f64_e32 v[24:25], v[14:15]
	s_mov_b32 s17, 0xbff921fb
	v_fma_f64 v[14:15], v[24:25], s[16:17], |v[10:11]|
	s_mov_b32 s17, 0xbc91a626
	s_mov_b32 s16, 0x33145c00
	v_mul_f64 v[26:27], v[24:25], s[16:17]
	v_add_f64 v[34:35], v[14:15], v[26:27]
	v_fma_f64 v[16:17], s[16:17], v[24:25], v[14:15]
	s_mov_b32 s17, 0x3c91a626
	v_add_f64 v[14:15], v[14:15], -v[34:35]
	v_fma_f64 v[28:29], s[16:17], v[24:25], v[26:27]
	v_add_f64 v[14:15], v[14:15], v[26:27]
	v_add_f64 v[26:27], v[34:35], -v[16:17]
	v_add_f64 v[14:15], v[26:27], v[14:15]
	s_mov_b32 s16, 0x252049c0
	v_add_f64 v[26:27], v[14:15], -v[28:29]
	s_mov_b32 s17, 0xb97b839a
	v_fmac_f64_e32 v[26:27], s[16:17], v[24:25]
	v_add_f64 v[14:15], v[16:17], v[26:27]
	v_add_f64 v[16:17], v[14:15], -v[16:17]
	v_add_f64 v[16:17], v[26:27], -v[16:17]
	v_cvt_i32_f64_e32 v31, v[24:25]
.LBB1_63:
	s_or_b64 exec, exec, s[4:5]
	v_div_scale_f64 v[24:25], s[4:5], v[18:19], v[18:19], 1.0
	v_rcp_f64_e32 v[26:27], v[24:25]
	v_div_scale_f64 v[28:29], vcc, 1.0, v[18:19], 1.0
	v_mov_b32_e32 v36, 0xb99518a7
	v_fma_f64 v[34:35], -v[24:25], v[26:27], 1.0
	v_fmac_f64_e32 v[26:27], v[26:27], v[34:35]
	v_fma_f64 v[34:35], -v[24:25], v[26:27], 1.0
	v_fmac_f64_e32 v[26:27], v[26:27], v[34:35]
	v_mul_f64 v[34:35], v[28:29], v[26:27]
	v_fma_f64 v[24:25], -v[24:25], v[34:35], v[28:29]
	v_div_fmas_f64 v[24:25], v[24:25], v[26:27], v[34:35]
	v_div_fixup_f64 v[18:19], v[24:25], v[18:19], 1.0
	v_mul_f64 v[24:25], v[18:19], v[18:19]
	v_mov_b32_e32 v26, 0xd50ae6fb
	v_mov_b32_e32 v27, 0xbfc0db6c
	v_fmac_f64_e32 v[26:27], 0, v[24:25]
	v_mov_b32_e32 v28, 0x98566852
	v_mov_b32_e32 v29, 0xbfe40bee
	v_fmac_f64_e32 v[28:29], v[24:25], v[26:27]
	;; [unrolled: 3-line block ×16, first 2 shown]
	v_mov_b32_e32 v37, 0x3e9e52b9
	v_mul_f64 v[38:39], v[20:21], v[20:21]
	v_fmac_f64_e32 v[36:37], v[24:25], v[34:35]
	v_mov_b32_e32 v34, 0xf68ea2d2
	v_mov_b32_e32 v35, 0xbe52041c
	v_mul_f64 v[26:27], v[38:39], 0.5
	v_fmac_f64_e32 v[34:35], v[24:25], v[28:29]
	v_add_f64 v[28:29], -v[26:27], 1.0
	s_mov_b32 s4, 0x9037ab78
	v_add_f64 v[48:49], -v[28:29], 1.0
	s_mov_b32 s5, 0x3e21eeb6
	s_mov_b32 s16, 0x46cc5e42
	v_add_f64 v[48:49], v[48:49], -v[26:27]
	s_mov_b32 s17, 0xbda907db
	v_pk_mov_b32 v[26:27], s[4:5], s[4:5] op_sel:[0,1]
	s_mov_b32 s18, 0xa17f65f6
	v_fma_f64 v[52:53], s[16:17], v[38:39], v[26:27]
	s_mov_b32 s19, 0xbe927e4f
	s_mov_b32 s20, 0x19f4ec90
	v_fma_f64 v[52:53], v[38:39], v[52:53], s[18:19]
	s_mov_b32 s21, 0x3efa01a0
	;; [unrolled: 3-line block ×4, first 2 shown]
	v_mul_f64 v[50:51], v[38:39], v[38:39]
	v_fma_f64 v[52:53], v[38:39], v[52:53], s[24:25]
	v_fma_f64 v[48:49], v[20:21], -v[22:23], v[48:49]
	s_mov_b32 s4, 0xb42fdfa7
	v_fmac_f64_e32 v[48:49], v[50:51], v[52:53]
	s_mov_b32 s5, 0xbe5ae600
	s_mov_b32 s26, 0xf9a43bb8
	v_add_f64 v[48:49], v[28:29], v[48:49]
	s_mov_b32 s27, 0x3de5e0b2
	v_pk_mov_b32 v[28:29], s[4:5], s[4:5] op_sel:[0,1]
	s_mov_b32 s28, 0x796cde01
	v_fma_f64 v[50:51], s[26:27], v[38:39], v[28:29]
	s_mov_b32 s29, 0x3ec71de3
	s_mov_b32 s30, 0x19e83e5c
	v_fma_f64 v[50:51], v[38:39], v[50:51], s[28:29]
	s_mov_b32 s31, 0xbf2a01a0
	;; [unrolled: 3-line block ×3, first 2 shown]
	v_fma_f64 v[50:51], v[38:39], v[50:51], s[34:35]
	v_mul_f64 v[52:53], v[20:21], -v[38:39]
	v_mul_f64 v[54:55], v[22:23], 0.5
	v_fmac_f64_e32 v[54:55], v[52:53], v[50:51]
	v_fma_f64 v[22:23], v[38:39], v[54:55], -v[22:23]
	s_mov_b32 s37, 0xbfc55555
	s_mov_b32 s36, s24
	v_fmac_f64_e32 v[22:23], s[36:37], v[52:53]
	v_add_f64 v[20:21], v[20:21], -v[22:23]
	v_and_b32_e32 v22, 1, v32
	v_cmp_eq_u32_e32 vcc, 0, v22
	v_cndmask_b32_e32 v38, v48, v20, vcc
	v_cndmask_b32_e32 v20, v49, v21, vcc
	v_lshlrev_b32_e32 v21, 30, v32
	v_xor_b32_e32 v21, v21, v11
	v_and_b32_e32 v21, 0x80000000, v21
	v_xor_b32_e32 v39, v20, v21
	v_mul_f64 v[20:21], v[24:25], v[34:35]
	v_div_scale_f64 v[22:23], s[4:5], v[36:37], v[36:37], v[20:21]
	v_rcp_f64_e32 v[32:33], v[22:23]
	s_movk_i32 vcc_lo, 0x1f8
	v_cmp_class_f64_e64 s[4:5], v[10:11], vcc_lo
	v_mov_b32_e32 v50, 0x7ff80000
	v_fma_f64 v[34:35], -v[22:23], v[32:33], 1.0
	v_fmac_f64_e32 v[32:33], v[32:33], v[34:35]
	v_fma_f64 v[34:35], -v[22:23], v[32:33], 1.0
	v_fmac_f64_e32 v[32:33], v[32:33], v[34:35]
	v_div_scale_f64 v[34:35], vcc, v[20:21], v[36:37], v[20:21]
	v_cndmask_b32_e64 v10, 0, v38, s[4:5]
	v_cndmask_b32_e64 v11, v50, v39, s[4:5]
	v_mul_f64 v[38:39], v[34:35], v[32:33]
	v_fma_f64 v[22:23], -v[22:23], v[38:39], v[34:35]
	v_div_fmas_f64 v[22:23], v[22:23], v[32:33], v[38:39]
	v_div_fixup_f64 v[20:21], v[22:23], v[36:37], v[20:21]
	v_mov_b32_e32 v22, 0xddcfbbde
	v_mov_b32_e32 v23, 0x3f943525
	v_fmac_f64_e32 v[22:23], 0, v[24:25]
	v_mov_b32_e32 v32, 0x6437b7
	v_mov_b32_e32 v33, 0x3fd907d5
	v_fmac_f64_e32 v[32:33], v[24:25], v[22:23]
	;; [unrolled: 3-line block ×16, first 2 shown]
	v_mov_b32_e32 v34, 0xed64a9ee
	v_mov_b32_e32 v35, 0x3fb6221d
	s_mov_b32 vcc_lo, 0
	v_fmac_f64_e32 v[34:35], v[24:25], v[32:33]
	v_mov_b32_e32 v32, 0x6be393bb
	v_mov_b32_e32 v33, 0x3f70e704
	s_brev_b32 vcc_hi, 8
	v_fmac_f64_e32 v[32:33], v[24:25], v[34:35]
	v_mov_b32_e32 v34, 0xd603a5a0
	v_mov_b32_e32 v35, 0x3f1a8b61
	v_cmp_gt_f64_e32 vcc, vcc, v[6:7]
	v_fmac_f64_e32 v[34:35], v[24:25], v[32:33]
	v_cndmask_b32_e64 v32, 0, 1, vcc
	v_lshlrev_b32_e32 v32, 8, v32
	v_ldexp_f64 v[6:7], v[6:7], v32
	v_rsq_f64_e32 v[32:33], v[6:7]
	v_mov_b32_e32 v36, 0xdb0724e8
	v_mov_b32_e32 v37, 0x3eb3a845
	v_fmac_f64_e32 v[36:37], v[24:25], v[34:35]
	v_mul_f64 v[34:35], v[6:7], v[32:33]
	v_mul_f64 v[32:33], v[32:33], 0.5
	v_fma_f64 v[38:39], -v[32:33], v[34:35], 0.5
	v_fmac_f64_e32 v[34:35], v[34:35], v[38:39]
	v_fma_f64 v[48:49], -v[34:35], v[34:35], v[6:7]
	v_fmac_f64_e32 v[32:33], v[32:33], v[38:39]
	v_fmac_f64_e32 v[34:35], v[48:49], v[32:33]
	v_fma_f64 v[38:39], -v[34:35], v[34:35], v[6:7]
	v_fmac_f64_e32 v[34:35], v[38:39], v[32:33]
	v_mov_b32_e32 v32, 0xffffff80
	v_cndmask_b32_e32 v32, 0, v32, vcc
	v_ldexp_f64 v[32:33], v[34:35], v32
	v_mov_b32_e32 v34, 0x260
	v_cmp_class_f64_e32 vcc, v[6:7], v34
	s_mov_b32 s38, 0x50429b6d
	v_cndmask_b32_e32 v7, v33, v7, vcc
	v_cndmask_b32_e32 v6, v32, v6, vcc
	s_mov_b32 s39, 0x3fe20dd7
	v_div_scale_f64 v[32:33], vcc, v[6:7], v[6:7], s[38:39]
	v_rcp_f64_e32 v[34:35], v[32:33]
	v_mov_b32_e32 v38, 0x3dd589d4
	v_mov_b32_e32 v39, 0x3e351fc7
	v_fmac_f64_e32 v[38:39], v[24:25], v[36:37]
	v_fma_f64 v[24:25], -v[32:33], v[34:35], 1.0
	v_fmac_f64_e32 v[34:35], v[34:35], v[24:25]
	v_fma_f64 v[24:25], -v[32:33], v[34:35], 1.0
	v_fmac_f64_e32 v[34:35], v[34:35], v[24:25]
	v_div_scale_f64 v[24:25], vcc, s[38:39], v[6:7], s[38:39]
	v_mul_f64 v[36:37], v[24:25], v[34:35]
	v_fma_f64 v[24:25], -v[32:33], v[36:37], v[24:25]
	v_add_f64 v[20:21], v[20:21], 1.0
	s_nop 0
	v_div_fmas_f64 v[24:25], v[24:25], v[34:35], v[36:37]
	v_div_fixup_f64 v[6:7], v[24:25], v[6:7], s[38:39]
	v_mul_f64 v[24:25], v[14:15], v[14:15]
	v_mul_f64 v[32:33], v[24:25], 0.5
	v_fmac_f64_e32 v[26:27], s[16:17], v[24:25]
	v_add_f64 v[34:35], -v[32:33], 1.0
	v_fma_f64 v[26:27], v[24:25], v[26:27], s[18:19]
	v_add_f64 v[36:37], -v[34:35], 1.0
	v_fma_f64 v[26:27], v[24:25], v[26:27], s[20:21]
	v_add_f64 v[32:33], v[36:37], -v[32:33]
	v_fma_f64 v[26:27], v[24:25], v[26:27], s[22:23]
	v_fmac_f64_e32 v[28:29], s[26:27], v[24:25]
	v_mul_f64 v[36:37], v[24:25], v[24:25]
	v_fma_f64 v[26:27], v[24:25], v[26:27], s[24:25]
	v_fma_f64 v[32:33], v[14:15], -v[16:17], v[32:33]
	v_fma_f64 v[28:29], v[24:25], v[28:29], s[28:29]
	v_fmac_f64_e32 v[32:33], v[36:37], v[26:27]
	v_fma_f64 v[28:29], v[24:25], v[28:29], s[30:31]
	v_add_f64 v[26:27], v[34:35], v[32:33]
	v_fma_f64 v[28:29], v[24:25], v[28:29], s[34:35]
	v_mul_f64 v[32:33], v[14:15], -v[24:25]
	v_mul_f64 v[34:35], v[16:17], 0.5
	v_fmac_f64_e32 v[34:35], v[32:33], v[28:29]
	v_fma_f64 v[16:17], v[24:25], v[34:35], -v[16:17]
	v_fmac_f64_e32 v[16:17], s[36:37], v[32:33]
	v_add_f64 v[14:15], v[14:15], -v[16:17]
	v_and_b32_e32 v16, 1, v31
	v_cmp_eq_u32_e32 vcc, 0, v16
	v_xor_b32_e32 v15, 0x80000000, v15
	v_cndmask_b32_e32 v24, v14, v26, vcc
	v_lshlrev_b32_e32 v14, 30, v31
	v_cndmask_b32_e32 v25, v15, v27, vcc
	v_and_b32_e32 v26, 0x80000000, v14
	v_mul_f64 v[14:15], v[18:19], v[22:23]
	v_div_scale_f64 v[16:17], s[16:17], v[38:39], v[38:39], v[14:15]
	v_rcp_f64_e32 v[18:19], v[16:17]
	v_xor_b32_e32 v23, v25, v26
	v_cndmask_b32_e64 v22, 0, v24, s[4:5]
	v_cndmask_b32_e64 v23, v50, v23, s[4:5]
	v_fma_f64 v[24:25], -v[16:17], v[18:19], 1.0
	v_fmac_f64_e32 v[18:19], v[18:19], v[24:25]
	v_fma_f64 v[24:25], -v[16:17], v[18:19], 1.0
	v_fmac_f64_e32 v[18:19], v[18:19], v[24:25]
	v_div_scale_f64 v[24:25], vcc, v[14:15], v[38:39], v[14:15]
	v_mul_f64 v[26:27], v[24:25], v[18:19]
	v_fma_f64 v[16:17], -v[16:17], v[26:27], v[24:25]
	s_nop 1
	v_div_fmas_f64 v[16:17], v[16:17], v[18:19], v[26:27]
	v_div_fixup_f64 v[14:15], v[16:17], v[38:39], v[14:15]
	v_mul_f64 v[14:15], v[14:15], v[22:23]
	v_fma_f64 v[10:11], v[20:21], v[10:11], -v[14:15]
	v_mul_f64 v[10:11], v[6:7], v[10:11]
.LBB1_64:
	s_or_b64 exec, exec, s[14:15]
.LBB1_65:
	s_or_b64 exec, exec, s[12:13]
.LBB1_66:
	s_or_b64 exec, exec, s[10:11]
	v_cmp_neq_f64_e64 s[4:5], |v[8:9]|, s[8:9]
	s_and_saveexec_b64 s[8:9], s[4:5]
	s_cbranch_execz .LBB1_88
; %bb.67:
	s_mov_b32 s4, 0x872b020c
	s_mov_b32 s5, 0x4059f916
	v_cmp_nlt_f64_e32 vcc, s[4:5], v[8:9]
	v_pk_mov_b32 v[12:13], 0, 0
	s_and_saveexec_b64 s[10:11], vcc
	s_cbranch_execz .LBB1_87
; %bb.68:
	s_mov_b32 s5, 0xc000b851
	s_mov_b32 s4, 0xeb851eb8
	v_cmp_ngt_f64_e32 vcc, s[4:5], v[8:9]
	s_and_saveexec_b64 s[12:13], vcc
	s_xor_b64 s[12:13], exec, s[12:13]
	s_cbranch_execz .LBB1_76
; %bb.69:
	s_mov_b32 s5, 0x4000b851
	v_cmp_nle_f64_e64 s[14:15], s[4:5], v[8:9]
	v_cmp_le_f64_e32 vcc, s[4:5], v[8:9]
	v_pk_mov_b32 v[12:13], 0, 0
	s_mov_b64 s[4:5], s[14:15]
	s_and_saveexec_b64 s[16:17], vcc
	s_cbranch_execz .LBB1_71
; %bb.70:
	s_mov_b32 s4, 0
	s_brev_b32 s5, 8
	v_cmp_gt_f64_e32 vcc, s[4:5], v[8:9]
	v_cndmask_b32_e64 v6, 0, 1, vcc
	v_lshlrev_b32_e32 v6, 8, v6
	v_ldexp_f64 v[6:7], v[8:9], v6
	v_rsq_f64_e32 v[12:13], v[6:7]
	v_mov_b32_e32 v26, 0xffffff80
	v_mov_b32_e32 v27, 0x260
	v_add_f64 v[14:15], v[8:9], v[8:9]
	v_mul_f64 v[16:17], v[6:7], v[12:13]
	v_mul_f64 v[12:13], v[12:13], 0.5
	v_fma_f64 v[18:19], -v[12:13], v[16:17], 0.5
	v_fmac_f64_e32 v[16:17], v[16:17], v[18:19]
	v_fma_f64 v[20:21], -v[16:17], v[16:17], v[6:7]
	v_fmac_f64_e32 v[12:13], v[12:13], v[18:19]
	v_fmac_f64_e32 v[16:17], v[20:21], v[12:13]
	v_fma_f64 v[18:19], -v[16:17], v[16:17], v[6:7]
	v_fmac_f64_e32 v[16:17], v[18:19], v[12:13]
	v_cndmask_b32_e32 v12, 0, v26, vcc
	v_ldexp_f64 v[12:13], v[16:17], v12
	v_cmp_class_f64_e32 vcc, v[6:7], v27
	v_cndmask_b32_e32 v7, v13, v7, vcc
	v_cndmask_b32_e32 v6, v12, v6, vcc
	s_mov_b32 s18, 0
	v_mul_f64 v[12:13], v[14:15], v[6:7]
	s_mov_b32 s19, 0x40080000
	v_div_scale_f64 v[14:15], s[20:21], s[18:19], s[18:19], v[12:13]
	v_rcp_f64_e32 v[16:17], v[14:15]
	v_fma_f64 v[18:19], -v[14:15], v[16:17], 1.0
	v_fmac_f64_e32 v[16:17], v[16:17], v[18:19]
	v_fma_f64 v[18:19], -v[14:15], v[16:17], 1.0
	v_fmac_f64_e32 v[16:17], v[16:17], v[18:19]
	v_div_scale_f64 v[18:19], vcc, v[12:13], s[18:19], v[12:13]
	v_mul_f64 v[20:21], v[18:19], v[16:17]
	v_fma_f64 v[14:15], -v[14:15], v[20:21], v[18:19]
	s_nop 1
	v_div_fmas_f64 v[14:15], v[14:15], v[16:17], v[20:21]
	v_div_fixup_f64 v[12:13], v[14:15], s[18:19], v[12:13]
	v_div_scale_f64 v[14:15], s[18:19], v[12:13], v[12:13], 1.0
	v_rcp_f64_e32 v[16:17], v[14:15]
	v_fma_f64 v[18:19], -v[14:15], v[16:17], 1.0
	v_fmac_f64_e32 v[16:17], v[16:17], v[18:19]
	v_fma_f64 v[18:19], -v[14:15], v[16:17], 1.0
	v_fmac_f64_e32 v[16:17], v[16:17], v[18:19]
	v_div_scale_f64 v[18:19], vcc, 1.0, v[12:13], 1.0
	v_mul_f64 v[20:21], v[18:19], v[16:17]
	v_fma_f64 v[14:15], -v[14:15], v[20:21], v[18:19]
	v_mov_b32_e32 v18, 0x871a9067
	s_nop 0
	v_div_fmas_f64 v[14:15], v[14:15], v[16:17], v[20:21]
	v_div_fixup_f64 v[14:15], v[14:15], v[12:13], 1.0
	v_mov_b32_e32 v16, 0x2537b658
	v_mov_b32_e32 v17, 0x3fd62dae
	v_fmac_f64_e32 v[16:17], 0, v[14:15]
	v_mov_b32_e32 v19, 0x402803e3
	v_fmac_f64_e32 v[18:19], v[14:15], v[16:17]
	v_mov_b32_e32 v16, 0xde2e1e3
	v_mov_b32_e32 v17, 0x405311e5
	v_fmac_f64_e32 v[16:17], v[14:15], v[18:19]
	v_mov_b32_e32 v18, 0xee40073c
	;; [unrolled: 3-line block ×12, first 2 shown]
	v_mov_b32_e32 v19, 0x402c311b
	v_fmac_f64_e32 v[18:19], v[14:15], v[20:21]
	v_fma_f64 v[18:19], v[14:15], v[18:19], 1.0
	v_fma_f64 v[14:15], v[14:15], v[16:17], 1.0
	v_div_scale_f64 v[16:17], s[18:19], v[18:19], v[18:19], v[14:15]
	v_rcp_f64_e32 v[20:21], v[16:17]
	v_fma_f64 v[22:23], -v[16:17], v[20:21], 1.0
	v_fmac_f64_e32 v[20:21], v[20:21], v[22:23]
	v_fma_f64 v[22:23], -v[16:17], v[20:21], 1.0
	v_fmac_f64_e32 v[20:21], v[20:21], v[22:23]
	v_div_scale_f64 v[22:23], vcc, v[14:15], v[18:19], v[14:15]
	v_mul_f64 v[24:25], v[22:23], v[20:21]
	v_fma_f64 v[16:17], -v[16:17], v[24:25], v[22:23]
	s_nop 1
	v_div_fmas_f64 v[16:17], v[16:17], v[20:21], v[24:25]
	v_cmp_gt_f64_e32 vcc, s[4:5], v[6:7]
	v_div_fixup_f64 v[14:15], v[16:17], v[18:19], v[14:15]
	v_cndmask_b32_e64 v16, 0, 1, vcc
	v_lshlrev_b32_e32 v16, 8, v16
	v_ldexp_f64 v[6:7], v[6:7], v16
	v_rsq_f64_e32 v[16:17], v[6:7]
	s_mov_b32 s4, 0x50429b6d
	s_mov_b32 s5, 0x3fe20dd7
	v_mul_f64 v[14:15], v[14:15], s[4:5]
	v_mul_f64 v[18:19], v[6:7], v[16:17]
	v_mul_f64 v[16:17], v[16:17], 0.5
	v_fma_f64 v[20:21], -v[16:17], v[18:19], 0.5
	v_fmac_f64_e32 v[18:19], v[18:19], v[20:21]
	v_fma_f64 v[22:23], -v[18:19], v[18:19], v[6:7]
	v_fmac_f64_e32 v[16:17], v[16:17], v[20:21]
	v_fmac_f64_e32 v[18:19], v[22:23], v[16:17]
	v_fma_f64 v[20:21], -v[18:19], v[18:19], v[6:7]
	v_fmac_f64_e32 v[18:19], v[20:21], v[16:17]
	v_cndmask_b32_e32 v16, 0, v26, vcc
	s_mov_b32 s4, 0x652b82fe
	v_ldexp_f64 v[16:17], v[18:19], v16
	v_cmp_class_f64_e32 vcc, v[6:7], v27
	s_mov_b32 s5, 0x3ff71547
	v_cndmask_b32_e32 v7, v17, v7, vcc
	v_cndmask_b32_e32 v6, v16, v6, vcc
	v_mul_f64 v[16:17], v[12:13], s[4:5]
	s_mov_b32 s4, 0xfefa39ef
	v_rndne_f64_e32 v[16:17], v[16:17]
	s_mov_b32 s5, 0xbfe62e42
	v_fma_f64 v[18:19], s[4:5], v[16:17], v[12:13]
	s_mov_b32 s4, 0x3b39803f
	s_mov_b32 s5, 0xbc7abc9e
	v_fmac_f64_e32 v[18:19], s[4:5], v[16:17]
	s_mov_b32 s4, 0x6a5dcb37
	v_mov_b32_e32 v20, 0xfca7ab0c
	v_mov_b32_e32 v21, 0x3e928af3
	s_mov_b32 s5, 0x3e5ade15
	v_fmac_f64_e32 v[20:21], s[4:5], v[18:19]
	v_mov_b32_e32 v22, 0x623fde64
	v_mov_b32_e32 v23, 0x3ec71dee
	v_fmac_f64_e32 v[22:23], v[18:19], v[20:21]
	v_mov_b32_e32 v20, 0x7c89e6b0
	v_mov_b32_e32 v21, 0x3efa0199
	;; [unrolled: 3-line block ×8, first 2 shown]
	s_mov_b32 s4, 0
	v_fmac_f64_e32 v[20:21], v[18:19], v[22:23]
	s_mov_b32 s5, 0x40900000
	v_fma_f64 v[20:21], v[18:19], v[20:21], 1.0
	v_cmp_nlt_f64_e32 vcc, s[4:5], v[12:13]
	s_mov_b32 s4, 0
	v_fma_f64 v[18:19], v[18:19], v[20:21], 1.0
	v_cvt_i32_f64_e32 v16, v[16:17]
	s_mov_b32 s5, 0xc090cc00
	v_ldexp_f64 v[16:17], v[18:19], v16
	v_mov_b32_e32 v18, 0x7ff00000
	v_cmp_ngt_f64_e64 s[4:5], s[4:5], v[12:13]
	v_cndmask_b32_e32 v17, v18, v17, vcc
	s_and_b64 vcc, s[4:5], vcc
	v_add_f64 v[6:7], v[6:7], v[6:7]
	v_cndmask_b32_e64 v13, 0, v17, s[4:5]
	v_cndmask_b32_e32 v12, 0, v16, vcc
	v_mul_f64 v[6:7], v[6:7], v[12:13]
	v_div_scale_f64 v[12:13], s[4:5], v[6:7], v[6:7], v[14:15]
	v_rcp_f64_e32 v[16:17], v[12:13]
	s_mov_b32 s4, 0xfd0a823a
	s_mov_b32 s5, 0x4020a402
	v_fma_f64 v[18:19], -v[12:13], v[16:17], 1.0
	v_fmac_f64_e32 v[16:17], v[16:17], v[18:19]
	v_fma_f64 v[18:19], -v[12:13], v[16:17], 1.0
	v_fmac_f64_e32 v[16:17], v[16:17], v[18:19]
	v_div_scale_f64 v[18:19], vcc, v[14:15], v[6:7], v[14:15]
	v_mul_f64 v[20:21], v[18:19], v[16:17]
	v_fma_f64 v[12:13], -v[12:13], v[20:21], v[18:19]
	s_nop 1
	v_div_fmas_f64 v[12:13], v[12:13], v[16:17], v[20:21]
	v_cmp_nlt_f64_e32 vcc, s[4:5], v[8:9]
	s_andn2_b64 s[4:5], s[14:15], exec
	s_and_b64 s[18:19], vcc, exec
	v_div_fixup_f64 v[12:13], v[12:13], v[6:7], v[14:15]
	s_or_b64 s[4:5], s[4:5], s[18:19]
.LBB1_71:
	s_or_b64 exec, exec, s[16:17]
	s_and_saveexec_b64 s[16:17], s[4:5]
	s_cbranch_execz .LBB1_75
; %bb.72:
	v_mov_b32_e32 v20, 0
	v_mul_f64 v[6:7], v[8:9], v[8:9]
	v_mov_b32_e32 v21, 0x3ff00000
	s_mov_b32 s20, 0
	v_mul_f64 v[14:15], v[8:9], v[6:7]
	s_mov_b64 s[18:19], 0
	s_mov_b32 s21, 0x3cb00000
	v_pk_mov_b32 v[18:19], v[20:21], v[20:21] op_sel:[0,1]
	v_pk_mov_b32 v[16:17], v[8:9], v[8:9] op_sel:[0,1]
	v_pk_mov_b32 v[6:7], v[20:21], v[20:21] op_sel:[0,1]
.LBB1_73:                               ; =>This Inner Loop Header: Depth=1
	v_mul_f64 v[20:21], v[14:15], v[20:21]
	v_add_f64 v[22:23], v[18:19], 1.0
	v_mul_f64 v[8:9], v[14:15], v[8:9]
	v_div_scale_f64 v[24:25], s[4:5], v[22:23], v[22:23], v[20:21]
	v_add_f64 v[28:29], v[22:23], 1.0
	v_rcp_f64_e32 v[32:33], v[24:25]
	v_div_scale_f64 v[34:35], s[4:5], v[28:29], v[28:29], v[8:9]
	v_rcp_f64_e32 v[38:39], v[34:35]
	v_fma_f64 v[48:49], -v[24:25], v[32:33], 1.0
	v_fmac_f64_e32 v[32:33], v[32:33], v[48:49]
	v_fma_f64 v[50:51], -v[24:25], v[32:33], 1.0
	v_fma_f64 v[48:49], -v[34:35], v[38:39], 1.0
	v_fmac_f64_e32 v[38:39], v[38:39], v[48:49]
	v_div_scale_f64 v[26:27], vcc, v[20:21], v[22:23], v[20:21]
	v_fmac_f64_e32 v[32:33], v[32:33], v[50:51]
	v_fma_f64 v[48:49], -v[34:35], v[38:39], 1.0
	v_div_scale_f64 v[36:37], s[4:5], v[8:9], v[28:29], v[8:9]
	v_mul_f64 v[50:51], v[26:27], v[32:33]
	v_fmac_f64_e32 v[38:39], v[38:39], v[48:49]
	v_fma_f64 v[24:25], -v[24:25], v[50:51], v[26:27]
	v_mul_f64 v[26:27], v[36:37], v[38:39]
	v_div_fmas_f64 v[24:25], v[24:25], v[32:33], v[50:51]
	v_fma_f64 v[32:33], -v[34:35], v[26:27], v[36:37]
	s_mov_b64 vcc, s[4:5]
	v_div_fixup_f64 v[20:21], v[24:25], v[22:23], v[20:21]
	v_div_fmas_f64 v[22:23], v[32:33], v[38:39], v[26:27]
	v_div_fixup_f64 v[8:9], v[22:23], v[28:29], v[8:9]
	v_div_scale_f64 v[22:23], s[4:5], v[28:29], v[28:29], v[20:21]
	v_add_f64 v[18:19], v[28:29], 1.0
	v_rcp_f64_e32 v[26:27], v[22:23]
	v_div_scale_f64 v[32:33], s[4:5], v[18:19], v[18:19], v[8:9]
	v_rcp_f64_e32 v[36:37], v[32:33]
	v_fma_f64 v[38:39], -v[22:23], v[26:27], 1.0
	v_fmac_f64_e32 v[26:27], v[26:27], v[38:39]
	v_fma_f64 v[48:49], -v[22:23], v[26:27], 1.0
	v_fma_f64 v[38:39], -v[32:33], v[36:37], 1.0
	v_div_scale_f64 v[24:25], vcc, v[20:21], v[28:29], v[20:21]
	v_fmac_f64_e32 v[36:37], v[36:37], v[38:39]
	v_fmac_f64_e32 v[26:27], v[26:27], v[48:49]
	v_fma_f64 v[38:39], -v[32:33], v[36:37], 1.0
	v_mul_f64 v[48:49], v[24:25], v[26:27]
	v_div_scale_f64 v[34:35], s[4:5], v[8:9], v[18:19], v[8:9]
	v_fmac_f64_e32 v[36:37], v[36:37], v[38:39]
	v_fma_f64 v[22:23], -v[22:23], v[48:49], v[24:25]
	v_mul_f64 v[24:25], v[34:35], v[36:37]
	v_div_fmas_f64 v[22:23], v[22:23], v[26:27], v[48:49]
	v_fma_f64 v[26:27], -v[32:33], v[24:25], v[34:35]
	v_div_fixup_f64 v[20:21], v[22:23], v[28:29], v[20:21]
	s_mov_b64 vcc, s[4:5]
	v_div_fmas_f64 v[22:23], v[26:27], v[36:37], v[24:25]
	v_add_f64 v[6:7], v[6:7], v[20:21]
	v_div_fixup_f64 v[8:9], v[22:23], v[18:19], v[8:9]
	v_div_scale_f64 v[22:23], s[4:5], v[6:7], v[6:7], v[20:21]
	v_rcp_f64_e32 v[24:25], v[22:23]
	v_div_scale_f64 v[26:27], vcc, v[20:21], v[6:7], v[20:21]
	v_add_f64 v[16:17], v[16:17], v[8:9]
	v_fma_f64 v[28:29], -v[22:23], v[24:25], 1.0
	v_fmac_f64_e32 v[24:25], v[24:25], v[28:29]
	v_fma_f64 v[28:29], -v[22:23], v[24:25], 1.0
	v_fmac_f64_e32 v[24:25], v[24:25], v[28:29]
	v_mul_f64 v[28:29], v[26:27], v[24:25]
	v_fma_f64 v[22:23], -v[22:23], v[28:29], v[26:27]
	v_div_fmas_f64 v[22:23], v[22:23], v[24:25], v[28:29]
	v_div_fixup_f64 v[22:23], v[22:23], v[6:7], v[20:21]
	v_cmp_ngt_f64_e64 s[4:5], |v[22:23]|, s[20:21]
	s_or_b64 s[18:19], s[4:5], s[18:19]
	s_andn2_b64 exec, exec, s[18:19]
	s_cbranch_execnz .LBB1_73
; %bb.74:
	s_or_b64 exec, exec, s[18:19]
	s_mov_b32 s4, 0x42b70f8b
	s_mov_b32 s5, 0xbfd0907f
	v_mul_f64 v[8:9], v[16:17], s[4:5]
	s_mov_b32 s4, 0x962715b8
	s_mov_b32 s5, 0x3fd6b8c7
	v_fmac_f64_e32 v[8:9], s[4:5], v[6:7]
	v_cndmask_b32_e64 v13, v13, v9, s[14:15]
	v_cndmask_b32_e64 v12, v12, v8, s[14:15]
.LBB1_75:
	s_or_b64 exec, exec, s[16:17]
                                        ; implicit-def: $vgpr8_vgpr9
.LBB1_76:
	s_andn2_saveexec_b64 s[12:13], s[12:13]
	s_cbranch_execz .LBB1_86
; %bb.77:
	s_mov_b32 s4, 0
	s_brev_b32 s5, 9
	v_cmp_lt_f64_e32 vcc, s[4:5], v[8:9]
	v_cndmask_b32_e64 v6, 0, 1, vcc
	v_lshlrev_b32_e32 v6, 8, v6
	v_ldexp_f64 v[6:7], -v[8:9], v6
	v_rsq_f64_e32 v[12:13], v[6:7]
	v_mul_f64 v[8:9], v[8:9], -2.0
	s_mov_b32 s14, 0
	s_mov_b32 s15, 0x40080000
	v_mul_f64 v[14:15], v[6:7], v[12:13]
	v_mul_f64 v[12:13], v[12:13], 0.5
	v_fma_f64 v[16:17], -v[12:13], v[14:15], 0.5
	v_fmac_f64_e32 v[14:15], v[14:15], v[16:17]
	v_fma_f64 v[18:19], -v[14:15], v[14:15], v[6:7]
	v_fmac_f64_e32 v[12:13], v[12:13], v[16:17]
	v_fmac_f64_e32 v[14:15], v[18:19], v[12:13]
	v_fma_f64 v[16:17], -v[14:15], v[14:15], v[6:7]
	v_fmac_f64_e32 v[14:15], v[16:17], v[12:13]
	v_mov_b32_e32 v12, 0xffffff80
	v_cndmask_b32_e32 v12, 0, v12, vcc
	v_ldexp_f64 v[12:13], v[14:15], v12
	v_mov_b32_e32 v14, 0x260
	v_cmp_class_f64_e32 vcc, v[6:7], v14
	v_cndmask_b32_e32 v7, v13, v7, vcc
	v_cndmask_b32_e32 v6, v12, v6, vcc
	v_mul_f64 v[8:9], v[8:9], v[6:7]
	v_div_scale_f64 v[12:13], s[4:5], s[14:15], s[14:15], v[8:9]
	v_rcp_f64_e32 v[14:15], v[12:13]
	s_mov_b32 s17, 0x3fe921fb
	s_mov_b32 s16, 0x54442d18
	s_movk_i32 s4, 0xff80
	v_fma_f64 v[16:17], -v[12:13], v[14:15], 1.0
	v_fmac_f64_e32 v[14:15], v[14:15], v[16:17]
	v_fma_f64 v[16:17], -v[12:13], v[14:15], 1.0
	v_fmac_f64_e32 v[14:15], v[14:15], v[16:17]
	v_div_scale_f64 v[16:17], vcc, v[8:9], s[14:15], v[8:9]
	v_mul_f64 v[18:19], v[16:17], v[14:15]
	v_fma_f64 v[12:13], -v[12:13], v[18:19], v[16:17]
                                        ; implicit-def: $vgpr29
                                        ; implicit-def: $vgpr20_vgpr21
	s_nop 1
	v_div_fmas_f64 v[12:13], v[12:13], v[14:15], v[18:19]
	v_div_fixup_f64 v[16:17], v[12:13], s[14:15], v[8:9]
	s_mov_b32 s14, 0
	v_add_f64 v[8:9], v[16:17], s[16:17]
	s_mov_b32 s15, 0x41d00000
	v_cmp_nlt_f64_e64 s[14:15], |v[8:9]|, s[14:15]
	v_trig_preop_f64 v[26:27], |v[8:9]|, 0
	v_trig_preop_f64 v[24:25], |v[8:9]|, 1
	v_trig_preop_f64 v[22:23], |v[8:9]|, 2
                                        ; implicit-def: $vgpr18_vgpr19
	s_and_saveexec_b64 s[18:19], s[14:15]
	s_xor_b64 s[18:19], exec, s[18:19]
	s_cbranch_execz .LBB1_79
; %bb.78:
	s_mov_b32 s20, 0
	s_mov_b32 s21, 0x7b000000
	v_and_b32_e32 v14, 0x7fffffff, v9
	v_ldexp_f64 v[12:13], |v[8:9]|, s4
	v_cmp_ge_f64_e64 vcc, |v[8:9]|, s[20:21]
	v_cndmask_b32_e32 v13, v14, v13, vcc
	v_cndmask_b32_e32 v12, v8, v12, vcc
	v_mul_f64 v[18:19], v[26:27], v[12:13]
	v_mul_f64 v[14:15], v[24:25], v[12:13]
	v_fma_f64 v[20:21], v[26:27], v[12:13], -v[18:19]
	v_add_f64 v[28:29], v[14:15], v[20:21]
	v_add_f64 v[32:33], v[18:19], v[28:29]
	s_mov_b32 s4, 0
	v_ldexp_f64 v[34:35], v[32:33], -2
	s_mov_b32 s5, 0x7ff00000
	v_fract_f64_e32 v[36:37], v[34:35]
	v_cmp_neq_f64_e64 vcc, |v[34:35]|, s[4:5]
	v_cndmask_b32_e32 v35, 0, v37, vcc
	v_cndmask_b32_e32 v34, 0, v36, vcc
	v_add_f64 v[36:37], v[28:29], -v[14:15]
	v_add_f64 v[20:21], v[20:21], -v[36:37]
	;; [unrolled: 1-line block ×4, first 2 shown]
	v_add_f64 v[20:21], v[20:21], v[36:37]
	v_fma_f64 v[14:15], v[24:25], v[12:13], -v[14:15]
	v_mul_f64 v[36:37], v[22:23], v[12:13]
	v_add_f64 v[48:49], v[36:37], v[14:15]
	v_add_f64 v[50:51], v[48:49], v[20:21]
	v_add_f64 v[18:19], v[32:33], -v[18:19]
	v_add_f64 v[32:33], v[50:51], -v[48:49]
	;; [unrolled: 1-line block ×5, first 2 shown]
	v_add_f64 v[20:21], v[20:21], v[32:33]
	v_add_f64 v[32:33], v[48:49], -v[36:37]
	v_add_f64 v[14:15], v[14:15], -v[32:33]
	;; [unrolled: 1-line block ×5, first 2 shown]
	v_add_f64 v[28:29], v[18:19], v[50:51]
	v_add_f64 v[14:15], v[14:15], v[32:33]
	v_add_f64 v[18:19], v[28:29], -v[18:19]
	v_add_f64 v[14:15], v[14:15], v[20:21]
	v_fma_f64 v[12:13], v[22:23], v[12:13], -v[36:37]
	v_add_f64 v[18:19], v[50:51], -v[18:19]
	v_add_f64 v[12:13], v[12:13], v[14:15]
	v_ldexp_f64 v[14:15], v[34:35], 2
	v_add_f64 v[12:13], v[18:19], v[12:13]
	v_add_f64 v[18:19], v[28:29], v[14:15]
	v_mov_b32_e32 v20, 0x40100000
	v_cmp_gt_f64_e32 vcc, 0, v[18:19]
	v_mov_b32_e32 v38, 0
	v_cndmask_b32_e32 v39, 0, v20, vcc
	v_add_f64 v[14:15], v[14:15], v[38:39]
	v_add_f64 v[18:19], v[28:29], v[14:15]
	v_cvt_i32_f64_e32 v20, v[18:19]
	v_cvt_f64_i32_e32 v[18:19], v20
	v_add_f64 v[14:15], v[14:15], -v[18:19]
	v_add_f64 v[18:19], v[28:29], v[14:15]
	v_add_f64 v[14:15], v[18:19], -v[14:15]
	v_add_f64 v[14:15], v[28:29], -v[14:15]
	v_add_f64 v[12:13], v[12:13], v[14:15]
	v_cmp_le_f64_e32 vcc, 0.5, v[18:19]
	v_mov_b32_e32 v14, 0x3ff00000
	v_cndmask_b32_e32 v39, 0, v14, vcc
	v_add_f64 v[14:15], v[18:19], -v[38:39]
	v_add_f64 v[18:19], v[14:15], v[12:13]
	v_addc_co_u32_e64 v29, s[4:5], 0, v20, vcc
	v_add_f64 v[14:15], v[18:19], -v[14:15]
	s_mov_b32 s17, 0x3ff921fb
	v_add_f64 v[12:13], v[12:13], -v[14:15]
	v_mul_f64 v[14:15], v[18:19], s[16:17]
	s_mov_b32 s4, 0x33145c07
	v_fma_f64 v[20:21], v[18:19], s[16:17], -v[14:15]
	s_mov_b32 s5, 0x3c91a626
	v_fmac_f64_e32 v[20:21], s[4:5], v[18:19]
	v_fmac_f64_e32 v[20:21], s[16:17], v[12:13]
	v_add_f64 v[18:19], v[14:15], v[20:21]
	v_add_f64 v[12:13], v[18:19], -v[14:15]
	v_add_f64 v[20:21], v[20:21], -v[12:13]
	s_andn2_saveexec_b64 s[4:5], s[18:19]
	s_cbranch_execz .LBB1_81
	s_branch .LBB1_80
.LBB1_79:
	s_andn2_saveexec_b64 s[4:5], s[18:19]
	s_cbranch_execz .LBB1_81
.LBB1_80:
	s_mov_b32 s16, 0x6dc9c883
	s_mov_b32 s17, 0x3fe45f30
	v_mul_f64 v[12:13], |v[8:9]|, s[16:17]
	s_mov_b32 s16, 0x54442d18
	v_rndne_f64_e32 v[12:13], v[12:13]
	s_mov_b32 s17, 0xbff921fb
	v_fma_f64 v[14:15], v[12:13], s[16:17], |v[8:9]|
	s_mov_b32 s17, 0xbc91a626
	s_mov_b32 s16, 0x33145c00
	v_mul_f64 v[18:19], v[12:13], s[16:17]
	v_add_f64 v[32:33], v[14:15], v[18:19]
	v_fma_f64 v[20:21], s[16:17], v[12:13], v[14:15]
	s_mov_b32 s17, 0x3c91a626
	v_add_f64 v[14:15], v[14:15], -v[32:33]
	v_fma_f64 v[28:29], s[16:17], v[12:13], v[18:19]
	v_add_f64 v[14:15], v[14:15], v[18:19]
	v_add_f64 v[18:19], v[32:33], -v[20:21]
	v_add_f64 v[14:15], v[18:19], v[14:15]
	s_mov_b32 s16, 0x252049c0
	v_add_f64 v[14:15], v[14:15], -v[28:29]
	s_mov_b32 s17, 0xb97b839a
	v_fmac_f64_e32 v[14:15], s[16:17], v[12:13]
	v_add_f64 v[18:19], v[20:21], v[14:15]
	v_add_f64 v[20:21], v[18:19], -v[20:21]
	v_add_f64 v[20:21], v[14:15], -v[20:21]
	v_cvt_i32_f64_e32 v29, v[12:13]
.LBB1_81:
	s_or_b64 exec, exec, s[4:5]
                                        ; implicit-def: $vgpr28
                                        ; implicit-def: $vgpr12_vgpr13
                                        ; implicit-def: $vgpr14_vgpr15
	s_and_saveexec_b64 s[4:5], s[14:15]
	s_xor_b64 s[14:15], exec, s[4:5]
	s_cbranch_execz .LBB1_83
; %bb.82:
	s_mov_b32 s4, 0
	s_mov_b32 s5, 0x7b000000
	s_movk_i32 s16, 0xff80
	v_and_b32_e32 v14, 0x7fffffff, v9
	v_ldexp_f64 v[12:13], |v[8:9]|, s16
	v_cmp_ge_f64_e64 vcc, |v[8:9]|, s[4:5]
	v_cndmask_b32_e32 v13, v14, v13, vcc
	v_cndmask_b32_e32 v12, v8, v12, vcc
	v_mul_f64 v[32:33], v[26:27], v[12:13]
	v_mul_f64 v[14:15], v[24:25], v[12:13]
	v_fma_f64 v[26:27], v[26:27], v[12:13], -v[32:33]
	v_add_f64 v[34:35], v[14:15], v[26:27]
	v_add_f64 v[36:37], v[32:33], v[34:35]
	s_mov_b32 s4, 0
	v_ldexp_f64 v[38:39], v[36:37], -2
	s_mov_b32 s5, 0x7ff00000
	v_fract_f64_e32 v[48:49], v[38:39]
	v_cmp_neq_f64_e64 vcc, |v[38:39]|, s[4:5]
	v_cndmask_b32_e32 v39, 0, v49, vcc
	v_cndmask_b32_e32 v38, 0, v48, vcc
	v_add_f64 v[48:49], v[34:35], -v[14:15]
	v_add_f64 v[26:27], v[26:27], -v[48:49]
	;; [unrolled: 1-line block ×4, first 2 shown]
	v_fma_f64 v[14:15], v[24:25], v[12:13], -v[14:15]
	v_mul_f64 v[24:25], v[22:23], v[12:13]
	v_add_f64 v[26:27], v[26:27], v[48:49]
	v_add_f64 v[48:49], v[24:25], v[14:15]
	;; [unrolled: 1-line block ×3, first 2 shown]
	v_add_f64 v[32:33], v[36:37], -v[32:33]
	v_add_f64 v[36:37], v[52:53], -v[48:49]
	;; [unrolled: 1-line block ×5, first 2 shown]
	v_add_f64 v[26:27], v[26:27], v[36:37]
	v_add_f64 v[36:37], v[48:49], -v[24:25]
	v_add_f64 v[14:15], v[14:15], -v[36:37]
	;; [unrolled: 1-line block ×4, first 2 shown]
	v_add_f64 v[14:15], v[14:15], v[36:37]
	v_add_f64 v[32:33], v[34:35], -v[32:33]
	v_add_f64 v[14:15], v[14:15], v[26:27]
	v_fma_f64 v[12:13], v[22:23], v[12:13], -v[24:25]
	v_add_f64 v[34:35], v[32:33], v[52:53]
	v_add_f64 v[12:13], v[12:13], v[14:15]
	v_ldexp_f64 v[14:15], v[38:39], 2
	v_add_f64 v[22:23], v[34:35], v[14:15]
	v_mov_b32_e32 v24, 0x40100000
	v_cmp_gt_f64_e32 vcc, 0, v[22:23]
	v_mov_b32_e32 v50, 0
	v_cndmask_b32_e32 v51, 0, v24, vcc
	v_add_f64 v[14:15], v[14:15], v[50:51]
	v_add_f64 v[22:23], v[34:35], v[14:15]
	v_cvt_i32_f64_e32 v24, v[22:23]
	v_cvt_f64_i32_e32 v[22:23], v24
	v_add_f64 v[14:15], v[14:15], -v[22:23]
	v_add_f64 v[32:33], v[34:35], -v[32:33]
	v_add_f64 v[22:23], v[34:35], v[14:15]
	v_add_f64 v[32:33], v[52:53], -v[32:33]
	v_add_f64 v[14:15], v[22:23], -v[14:15]
	v_add_f64 v[12:13], v[32:33], v[12:13]
	v_add_f64 v[14:15], v[34:35], -v[14:15]
	v_add_f64 v[12:13], v[12:13], v[14:15]
	v_cmp_le_f64_e32 vcc, 0.5, v[22:23]
	v_mov_b32_e32 v14, 0x3ff00000
	v_cndmask_b32_e32 v51, 0, v14, vcc
	v_addc_co_u32_e64 v28, s[4:5], 0, v24, vcc
	v_add_f64 v[14:15], v[22:23], -v[50:51]
	v_add_f64 v[22:23], v[14:15], v[12:13]
	s_mov_b32 s4, 0x54442d18
	v_add_f64 v[14:15], v[22:23], -v[14:15]
	s_mov_b32 s5, 0x3ff921fb
	v_add_f64 v[12:13], v[12:13], -v[14:15]
	v_mul_f64 v[14:15], v[22:23], s[4:5]
	s_mov_b32 s16, 0x33145c07
	v_fma_f64 v[24:25], v[22:23], s[4:5], -v[14:15]
	s_mov_b32 s17, 0x3c91a626
	v_fmac_f64_e32 v[24:25], s[16:17], v[22:23]
	v_fmac_f64_e32 v[24:25], s[4:5], v[12:13]
	v_add_f64 v[12:13], v[14:15], v[24:25]
	v_add_f64 v[14:15], v[12:13], -v[14:15]
	v_add_f64 v[14:15], v[24:25], -v[14:15]
	s_andn2_saveexec_b64 s[4:5], s[14:15]
	s_cbranch_execnz .LBB1_84
	s_branch .LBB1_85
.LBB1_83:
	s_andn2_saveexec_b64 s[4:5], s[14:15]
	s_cbranch_execz .LBB1_85
.LBB1_84:
	s_mov_b32 s14, 0x6dc9c883
	s_mov_b32 s15, 0x3fe45f30
	v_mul_f64 v[12:13], |v[8:9]|, s[14:15]
	s_mov_b32 s14, 0x54442d18
	v_rndne_f64_e32 v[22:23], v[12:13]
	s_mov_b32 s15, 0xbff921fb
	v_fma_f64 v[12:13], v[22:23], s[14:15], |v[8:9]|
	s_mov_b32 s15, 0xbc91a626
	s_mov_b32 s14, 0x33145c00
	v_mul_f64 v[24:25], v[22:23], s[14:15]
	v_add_f64 v[32:33], v[12:13], v[24:25]
	v_fma_f64 v[14:15], s[14:15], v[22:23], v[12:13]
	s_mov_b32 s15, 0x3c91a626
	v_add_f64 v[12:13], v[12:13], -v[32:33]
	v_fma_f64 v[26:27], s[14:15], v[22:23], v[24:25]
	v_add_f64 v[12:13], v[12:13], v[24:25]
	v_add_f64 v[24:25], v[32:33], -v[14:15]
	v_add_f64 v[12:13], v[24:25], v[12:13]
	s_mov_b32 s14, 0x252049c0
	v_add_f64 v[24:25], v[12:13], -v[26:27]
	s_mov_b32 s15, 0xb97b839a
	v_fmac_f64_e32 v[24:25], s[14:15], v[22:23]
	v_add_f64 v[12:13], v[14:15], v[24:25]
	v_add_f64 v[14:15], v[12:13], -v[14:15]
	v_add_f64 v[14:15], v[24:25], -v[14:15]
	v_cvt_i32_f64_e32 v28, v[22:23]
.LBB1_85:
	s_or_b64 exec, exec, s[4:5]
	v_div_scale_f64 v[22:23], s[4:5], v[16:17], v[16:17], 1.0
	v_rcp_f64_e32 v[24:25], v[22:23]
	v_div_scale_f64 v[26:27], vcc, 1.0, v[16:17], 1.0
	v_mov_b32_e32 v34, 0xb99518a7
	v_fma_f64 v[32:33], -v[22:23], v[24:25], 1.0
	v_fmac_f64_e32 v[24:25], v[24:25], v[32:33]
	v_fma_f64 v[32:33], -v[22:23], v[24:25], 1.0
	v_fmac_f64_e32 v[24:25], v[24:25], v[32:33]
	v_mul_f64 v[32:33], v[26:27], v[24:25]
	v_fma_f64 v[22:23], -v[22:23], v[32:33], v[26:27]
	v_div_fmas_f64 v[22:23], v[22:23], v[24:25], v[32:33]
	v_div_fixup_f64 v[16:17], v[22:23], v[16:17], 1.0
	v_mul_f64 v[22:23], v[16:17], v[16:17]
	v_mov_b32_e32 v24, 0xd50ae6fb
	v_mov_b32_e32 v25, 0xbfc0db6c
	v_fmac_f64_e32 v[24:25], 0, v[22:23]
	v_mov_b32_e32 v26, 0x98566852
	v_mov_b32_e32 v27, 0xbfe40bee
	v_fmac_f64_e32 v[26:27], v[22:23], v[24:25]
	;; [unrolled: 3-line block ×16, first 2 shown]
	v_mov_b32_e32 v35, 0x3e9e52b9
	v_mul_f64 v[36:37], v[18:19], v[18:19]
	v_fmac_f64_e32 v[34:35], v[22:23], v[32:33]
	v_mov_b32_e32 v32, 0xf68ea2d2
	v_mov_b32_e32 v33, 0xbe52041c
	v_mul_f64 v[24:25], v[36:37], 0.5
	v_fmac_f64_e32 v[32:33], v[22:23], v[26:27]
	v_add_f64 v[26:27], -v[24:25], 1.0
	s_mov_b32 s4, 0x9037ab78
	v_add_f64 v[38:39], -v[26:27], 1.0
	s_mov_b32 s5, 0x3e21eeb6
	s_mov_b32 s14, 0x46cc5e42
	v_add_f64 v[38:39], v[38:39], -v[24:25]
	s_mov_b32 s15, 0xbda907db
	v_pk_mov_b32 v[24:25], s[4:5], s[4:5] op_sel:[0,1]
	s_mov_b32 s16, 0xa17f65f6
	v_fma_f64 v[50:51], s[14:15], v[36:37], v[24:25]
	s_mov_b32 s17, 0xbe927e4f
	s_mov_b32 s18, 0x19f4ec90
	v_fma_f64 v[50:51], v[36:37], v[50:51], s[16:17]
	s_mov_b32 s19, 0x3efa01a0
	;; [unrolled: 3-line block ×4, first 2 shown]
	v_mul_f64 v[48:49], v[36:37], v[36:37]
	v_fma_f64 v[50:51], v[36:37], v[50:51], s[22:23]
	v_fma_f64 v[38:39], v[18:19], -v[20:21], v[38:39]
	s_mov_b32 s4, 0xb42fdfa7
	v_fmac_f64_e32 v[38:39], v[48:49], v[50:51]
	s_mov_b32 s5, 0xbe5ae600
	s_mov_b32 s24, 0xf9a43bb8
	v_add_f64 v[38:39], v[26:27], v[38:39]
	s_mov_b32 s25, 0x3de5e0b2
	v_pk_mov_b32 v[26:27], s[4:5], s[4:5] op_sel:[0,1]
	s_mov_b32 s26, 0x796cde01
	v_fma_f64 v[48:49], s[24:25], v[36:37], v[26:27]
	s_mov_b32 s27, 0x3ec71de3
	s_mov_b32 s28, 0x19e83e5c
	v_fma_f64 v[48:49], v[36:37], v[48:49], s[26:27]
	s_mov_b32 s29, 0xbf2a01a0
	;; [unrolled: 3-line block ×3, first 2 shown]
	v_fma_f64 v[48:49], v[36:37], v[48:49], s[30:31]
	v_mul_f64 v[50:51], v[18:19], -v[36:37]
	v_mul_f64 v[52:53], v[20:21], 0.5
	v_fmac_f64_e32 v[52:53], v[50:51], v[48:49]
	v_fma_f64 v[20:21], v[36:37], v[52:53], -v[20:21]
	s_mov_b32 s35, 0xbfc55555
	s_mov_b32 s34, s22
	v_fmac_f64_e32 v[20:21], s[34:35], v[50:51]
	v_add_f64 v[18:19], v[18:19], -v[20:21]
	v_and_b32_e32 v20, 1, v29
	v_cmp_eq_u32_e32 vcc, 0, v20
	v_cndmask_b32_e32 v31, v38, v18, vcc
	v_cndmask_b32_e32 v18, v39, v19, vcc
	v_lshlrev_b32_e32 v19, 30, v29
	v_xor_b32_e32 v19, v19, v9
	v_and_b32_e32 v19, 0x80000000, v19
	v_xor_b32_e32 v29, v18, v19
	v_mul_f64 v[18:19], v[22:23], v[32:33]
	v_div_scale_f64 v[20:21], s[4:5], v[34:35], v[34:35], v[18:19]
	v_rcp_f64_e32 v[32:33], v[20:21]
	s_movk_i32 vcc_lo, 0x1f8
	v_cmp_class_f64_e64 s[4:5], v[8:9], vcc_lo
	v_cndmask_b32_e64 v8, 0, v31, s[4:5]
	v_fma_f64 v[36:37], -v[20:21], v[32:33], 1.0
	v_fmac_f64_e32 v[32:33], v[32:33], v[36:37]
	v_fma_f64 v[36:37], -v[20:21], v[32:33], 1.0
	v_fmac_f64_e32 v[32:33], v[32:33], v[36:37]
	v_div_scale_f64 v[36:37], vcc, v[18:19], v[34:35], v[18:19]
	v_mul_f64 v[38:39], v[36:37], v[32:33]
	v_fma_f64 v[20:21], -v[20:21], v[38:39], v[36:37]
	v_mov_b32_e32 v31, 0x7ff80000
	s_nop 0
	v_div_fmas_f64 v[20:21], v[20:21], v[32:33], v[38:39]
	v_div_fixup_f64 v[18:19], v[20:21], v[34:35], v[18:19]
	v_mov_b32_e32 v20, 0xddcfbbde
	v_mov_b32_e32 v21, 0x3f943525
	v_fmac_f64_e32 v[20:21], 0, v[22:23]
	v_mov_b32_e32 v32, 0x6437b7
	v_mov_b32_e32 v33, 0x3fd907d5
	v_fmac_f64_e32 v[32:33], v[22:23], v[20:21]
	;; [unrolled: 3-line block ×13, first 2 shown]
	v_mov_b32_e32 v32, 0x7ea7dc35
	v_mov_b32_e32 v33, 0x402f211b
	s_mov_b32 vcc_lo, 0
	v_fmac_f64_e32 v[32:33], v[22:23], v[34:35]
	v_mov_b32_e32 v34, 0x2b79dbce
	v_mov_b32_e32 v35, 0x4015e84e
	s_brev_b32 vcc_hi, 8
	v_fmac_f64_e32 v[34:35], v[22:23], v[32:33]
	v_mov_b32_e32 v32, 0xc195ece3
	v_mov_b32_e32 v33, 0x3fee8992
	v_cmp_gt_f64_e32 vcc, vcc, v[6:7]
	v_cndmask_b32_e64 v9, v31, v29, s[4:5]
	v_fmac_f64_e32 v[32:33], v[22:23], v[34:35]
	v_mov_b32_e32 v34, 0xed64a9ee
	v_mov_b32_e32 v35, 0x3fb6221d
	v_cndmask_b32_e64 v29, 0, 1, vcc
	v_fmac_f64_e32 v[34:35], v[22:23], v[32:33]
	v_mov_b32_e32 v32, 0x6be393bb
	v_mov_b32_e32 v33, 0x3f70e704
	v_lshlrev_b32_e32 v29, 8, v29
	v_fmac_f64_e32 v[32:33], v[22:23], v[34:35]
	v_mov_b32_e32 v34, 0xd603a5a0
	v_mov_b32_e32 v35, 0x3f1a8b61
	v_ldexp_f64 v[6:7], v[6:7], v29
	v_fmac_f64_e32 v[34:35], v[22:23], v[32:33]
	v_rsq_f64_e32 v[32:33], v[6:7]
	v_mov_b32_e32 v36, 0xdb0724e8
	v_mov_b32_e32 v37, 0x3eb3a845
	v_fmac_f64_e32 v[36:37], v[22:23], v[34:35]
	v_mul_f64 v[34:35], v[6:7], v[32:33]
	v_mul_f64 v[32:33], v[32:33], 0.5
	v_fma_f64 v[38:39], -v[32:33], v[34:35], 0.5
	v_fmac_f64_e32 v[34:35], v[34:35], v[38:39]
	v_fma_f64 v[48:49], -v[34:35], v[34:35], v[6:7]
	v_fmac_f64_e32 v[32:33], v[32:33], v[38:39]
	v_fmac_f64_e32 v[34:35], v[48:49], v[32:33]
	v_fma_f64 v[38:39], -v[34:35], v[34:35], v[6:7]
	v_mov_b32_e32 v29, 0xffffff80
	v_fmac_f64_e32 v[34:35], v[38:39], v[32:33]
	v_cndmask_b32_e32 v29, 0, v29, vcc
	v_ldexp_f64 v[32:33], v[34:35], v29
	v_mov_b32_e32 v29, 0x260
	v_cmp_class_f64_e32 vcc, v[6:7], v29
	s_mov_b32 s36, 0x50429b6d
	v_cndmask_b32_e32 v7, v33, v7, vcc
	v_cndmask_b32_e32 v6, v32, v6, vcc
	s_mov_b32 s37, 0x3fe20dd7
	v_div_scale_f64 v[32:33], vcc, v[6:7], v[6:7], s[36:37]
	v_rcp_f64_e32 v[34:35], v[32:33]
	v_mov_b32_e32 v38, 0x3dd589d4
	v_mov_b32_e32 v39, 0x3e351fc7
	v_fmac_f64_e32 v[38:39], v[22:23], v[36:37]
	v_fma_f64 v[22:23], -v[32:33], v[34:35], 1.0
	v_fmac_f64_e32 v[34:35], v[34:35], v[22:23]
	v_fma_f64 v[22:23], -v[32:33], v[34:35], 1.0
	v_fmac_f64_e32 v[34:35], v[34:35], v[22:23]
	v_div_scale_f64 v[22:23], vcc, s[36:37], v[6:7], s[36:37]
	v_mul_f64 v[36:37], v[22:23], v[34:35]
	v_fma_f64 v[22:23], -v[32:33], v[36:37], v[22:23]
	v_add_f64 v[18:19], v[18:19], 1.0
	s_nop 0
	v_div_fmas_f64 v[22:23], v[22:23], v[34:35], v[36:37]
	v_div_fixup_f64 v[6:7], v[22:23], v[6:7], s[36:37]
	v_mul_f64 v[22:23], v[12:13], v[12:13]
	v_mul_f64 v[32:33], v[22:23], 0.5
	v_fmac_f64_e32 v[24:25], s[14:15], v[22:23]
	v_add_f64 v[34:35], -v[32:33], 1.0
	v_fma_f64 v[24:25], v[22:23], v[24:25], s[16:17]
	v_add_f64 v[36:37], -v[34:35], 1.0
	v_fma_f64 v[24:25], v[22:23], v[24:25], s[18:19]
	v_add_f64 v[32:33], v[36:37], -v[32:33]
	v_fma_f64 v[24:25], v[22:23], v[24:25], s[20:21]
	v_fmac_f64_e32 v[26:27], s[24:25], v[22:23]
	v_mul_f64 v[36:37], v[22:23], v[22:23]
	v_fma_f64 v[24:25], v[22:23], v[24:25], s[22:23]
	v_fma_f64 v[32:33], v[12:13], -v[14:15], v[32:33]
	v_fma_f64 v[26:27], v[22:23], v[26:27], s[26:27]
	v_fmac_f64_e32 v[32:33], v[36:37], v[24:25]
	v_fma_f64 v[26:27], v[22:23], v[26:27], s[28:29]
	v_add_f64 v[24:25], v[34:35], v[32:33]
	v_fma_f64 v[26:27], v[22:23], v[26:27], s[30:31]
	v_mul_f64 v[32:33], v[12:13], -v[22:23]
	v_mul_f64 v[34:35], v[14:15], 0.5
	v_fmac_f64_e32 v[34:35], v[32:33], v[26:27]
	v_fma_f64 v[14:15], v[22:23], v[34:35], -v[14:15]
	v_fmac_f64_e32 v[14:15], s[34:35], v[32:33]
	v_add_f64 v[12:13], v[12:13], -v[14:15]
	v_and_b32_e32 v14, 1, v28
	v_cmp_eq_u32_e32 vcc, 0, v14
	v_xor_b32_e32 v13, 0x80000000, v13
	v_cndmask_b32_e32 v22, v12, v24, vcc
	v_lshlrev_b32_e32 v12, 30, v28
	v_cndmask_b32_e32 v23, v13, v25, vcc
	v_and_b32_e32 v24, 0x80000000, v12
	v_mul_f64 v[12:13], v[16:17], v[20:21]
	v_div_scale_f64 v[14:15], s[14:15], v[38:39], v[38:39], v[12:13]
	v_rcp_f64_e32 v[16:17], v[14:15]
	v_xor_b32_e32 v21, v23, v24
	v_cndmask_b32_e64 v20, 0, v22, s[4:5]
	v_cndmask_b32_e64 v21, v31, v21, s[4:5]
	v_fma_f64 v[22:23], -v[14:15], v[16:17], 1.0
	v_fmac_f64_e32 v[16:17], v[16:17], v[22:23]
	v_fma_f64 v[22:23], -v[14:15], v[16:17], 1.0
	v_fmac_f64_e32 v[16:17], v[16:17], v[22:23]
	v_div_scale_f64 v[22:23], vcc, v[12:13], v[38:39], v[12:13]
	v_mul_f64 v[24:25], v[22:23], v[16:17]
	v_fma_f64 v[14:15], -v[14:15], v[24:25], v[22:23]
	s_nop 1
	v_div_fmas_f64 v[14:15], v[14:15], v[16:17], v[24:25]
	v_div_fixup_f64 v[12:13], v[14:15], v[38:39], v[12:13]
	v_mul_f64 v[12:13], v[12:13], v[20:21]
	v_fma_f64 v[8:9], v[18:19], v[8:9], -v[12:13]
	v_mul_f64 v[12:13], v[6:7], v[8:9]
.LBB1_86:
	s_or_b64 exec, exec, s[12:13]
.LBB1_87:
	s_or_b64 exec, exec, s[10:11]
.LBB1_88:
	s_or_b64 exec, exec, s[8:9]
	v_mov_b32_e32 v6, s7
	v_add_co_u32_e32 v0, vcc, s6, v0
	v_addc_co_u32_e32 v1, vcc, v1, v6, vcc
	v_add_co_u32_e32 v0, vcc, v0, v30
	v_addc_co_u32_e32 v1, vcc, 0, v1, vcc
	v_readlane_b32 s30, v40, 6
	flat_store_dwordx4 v[0:1], v[2:5]
	flat_store_dwordx4 v[0:1], v[10:13] offset:16
	v_readlane_b32 s31, v40, 7
	v_readlane_b32 s39, v40, 5
	;; [unrolled: 1-line block ×7, first 2 shown]
	s_or_saveexec_b64 s[4:5], -1
	buffer_load_dword v40, off, s[0:3], s32 ; 4-byte Folded Reload
	s_mov_b64 exec, s[4:5]
	s_waitcnt vmcnt(0) lgkmcnt(0)
	s_setpc_b64 s[30:31]
.Lfunc_end1:
	.size	_ZN2at6native25elementwise_kernel_helperILb0EZZZNS0_12_GLOBAL__N_119airy_ai_kernel_cudaERNS_18TensorIteratorBaseEENKUlvE_clEvENKUlvE_clEvEUldE_NS0_6memory8policies10vectorizedILi4ESt5arrayIPcLm2EELi4EEEEEvT0_T1_, .Lfunc_end1-_ZN2at6native25elementwise_kernel_helperILb0EZZZNS0_12_GLOBAL__N_119airy_ai_kernel_cudaERNS_18TensorIteratorBaseEENKUlvE_clEvENKUlvE_clEvEUldE_NS0_6memory8policies10vectorizedILi4ESt5arrayIPcLm2EELi4EEEEEvT0_T1_
                                        ; -- End function
	.section	.AMDGPU.csdata,"",@progbits
; Function info:
; codeLenInByte = 24296
; NumSgprs: 44
; NumVgprs: 56
; NumAgprs: 0
; TotalNumVgprs: 56
; ScratchSize: 8
; MemoryBound: 0
	.section	.text._ZN2at6native29vectorized_elementwise_kernelILi16EZZZNS0_12_GLOBAL__N_119airy_ai_kernel_cudaERNS_18TensorIteratorBaseEENKUlvE_clEvENKUlvE_clEvEUldE_St5arrayIPcLm2EEEEviT0_T1_,"axG",@progbits,_ZN2at6native29vectorized_elementwise_kernelILi16EZZZNS0_12_GLOBAL__N_119airy_ai_kernel_cudaERNS_18TensorIteratorBaseEENKUlvE_clEvENKUlvE_clEvEUldE_St5arrayIPcLm2EEEEviT0_T1_,comdat
	.globl	_ZN2at6native29vectorized_elementwise_kernelILi16EZZZNS0_12_GLOBAL__N_119airy_ai_kernel_cudaERNS_18TensorIteratorBaseEENKUlvE_clEvENKUlvE_clEvEUldE_St5arrayIPcLm2EEEEviT0_T1_ ; -- Begin function _ZN2at6native29vectorized_elementwise_kernelILi16EZZZNS0_12_GLOBAL__N_119airy_ai_kernel_cudaERNS_18TensorIteratorBaseEENKUlvE_clEvENKUlvE_clEvEUldE_St5arrayIPcLm2EEEEviT0_T1_
	.p2align	8
	.type	_ZN2at6native29vectorized_elementwise_kernelILi16EZZZNS0_12_GLOBAL__N_119airy_ai_kernel_cudaERNS_18TensorIteratorBaseEENKUlvE_clEvENKUlvE_clEvEUldE_St5arrayIPcLm2EEEEviT0_T1_,@function
_ZN2at6native29vectorized_elementwise_kernelILi16EZZZNS0_12_GLOBAL__N_119airy_ai_kernel_cudaERNS_18TensorIteratorBaseEENKUlvE_clEvENKUlvE_clEvEUldE_St5arrayIPcLm2EEEEviT0_T1_: ; @_ZN2at6native29vectorized_elementwise_kernelILi16EZZZNS0_12_GLOBAL__N_119airy_ai_kernel_cudaERNS_18TensorIteratorBaseEENKUlvE_clEvENKUlvE_clEvEUldE_St5arrayIPcLm2EEEEviT0_T1_
; %bb.0:
	s_add_u32 flat_scratch_lo, s6, s9
	s_load_dword s6, s[4:5], 0x0
	s_load_dwordx4 s[40:43], s[4:5], 0x8
	s_addc_u32 flat_scratch_hi, s7, 0
	s_add_u32 s0, s0, s9
	s_addc_u32 s1, s1, 0
	s_lshl_b32 s4, s8, 10
	s_waitcnt lgkmcnt(0)
	s_sub_i32 s44, s6, s4
	s_mov_b32 s33, s8
	v_mov_b32_e32 v41, v0
	s_cmpk_gt_i32 s44, 0x3ff
	s_mov_b64 s[4:5], -1
	s_mov_b32 s32, 0
	s_cbranch_scc1 .LBB2_3
; %bb.1:
	s_andn2_b64 vcc, exec, s[4:5]
	s_cbranch_vccz .LBB2_4
.LBB2_2:
	s_endpgm
.LBB2_3:
	s_mov_b32 s12, s33
	v_mov_b32_e32 v31, v41
	v_mov_b32_e32 v0, s40
	;; [unrolled: 1-line block ×5, first 2 shown]
	s_getpc_b64 s[4:5]
	s_add_u32 s4, s4, _ZN2at6native25elementwise_kernel_helperILb0EZZZNS0_12_GLOBAL__N_119airy_ai_kernel_cudaERNS_18TensorIteratorBaseEENKUlvE_clEvENKUlvE_clEvEUldE_NS0_6memory8policies10vectorizedILi4ESt5arrayIPcLm2EELi4EEEEEvT0_T1_@rel32@lo+4
	s_addc_u32 s5, s5, _ZN2at6native25elementwise_kernel_helperILb0EZZZNS0_12_GLOBAL__N_119airy_ai_kernel_cudaERNS_18TensorIteratorBaseEENKUlvE_clEvENKUlvE_clEvEUldE_NS0_6memory8policies10vectorizedILi4ESt5arrayIPcLm2EELi4EEEEEvT0_T1_@rel32@hi+12
	s_swappc_b64 s[30:31], s[4:5]
	s_cbranch_execnz .LBB2_2
.LBB2_4:
	s_mov_b32 s12, s33
	v_mov_b32_e32 v31, v41
	v_mov_b32_e32 v0, s40
	;; [unrolled: 1-line block ×6, first 2 shown]
	s_getpc_b64 s[4:5]
	s_add_u32 s4, s4, _ZN2at6native25elementwise_kernel_helperILb0EZZZNS0_12_GLOBAL__N_119airy_ai_kernel_cudaERNS_18TensorIteratorBaseEENKUlvE_clEvENKUlvE_clEvEUldE_NS0_6memory8policies11unroll_baseILi256ESt5arrayIPcLm2EE23TrivialOffsetCalculatorILi1EjESF_NS8_15LoadWithoutCastENS8_16StoreWithoutCastELi4ELi1EEEEEvT0_T1_@rel32@lo+4
	s_addc_u32 s5, s5, _ZN2at6native25elementwise_kernel_helperILb0EZZZNS0_12_GLOBAL__N_119airy_ai_kernel_cudaERNS_18TensorIteratorBaseEENKUlvE_clEvENKUlvE_clEvEUldE_NS0_6memory8policies11unroll_baseILi256ESt5arrayIPcLm2EE23TrivialOffsetCalculatorILi1EjESF_NS8_15LoadWithoutCastENS8_16StoreWithoutCastELi4ELi1EEEEEvT0_T1_@rel32@hi+12
	s_swappc_b64 s[30:31], s[4:5]
	s_endpgm
	.section	.rodata,"a",@progbits
	.p2align	6, 0x0
	.amdhsa_kernel _ZN2at6native29vectorized_elementwise_kernelILi16EZZZNS0_12_GLOBAL__N_119airy_ai_kernel_cudaERNS_18TensorIteratorBaseEENKUlvE_clEvENKUlvE_clEvEUldE_St5arrayIPcLm2EEEEviT0_T1_
		.amdhsa_group_segment_fixed_size 0
		.amdhsa_private_segment_fixed_size 8
		.amdhsa_kernarg_size 24
		.amdhsa_user_sgpr_count 8
		.amdhsa_user_sgpr_private_segment_buffer 1
		.amdhsa_user_sgpr_dispatch_ptr 0
		.amdhsa_user_sgpr_queue_ptr 0
		.amdhsa_user_sgpr_kernarg_segment_ptr 1
		.amdhsa_user_sgpr_dispatch_id 0
		.amdhsa_user_sgpr_flat_scratch_init 1
		.amdhsa_user_sgpr_kernarg_preload_length 0
		.amdhsa_user_sgpr_kernarg_preload_offset 0
		.amdhsa_user_sgpr_private_segment_size 0
		.amdhsa_uses_dynamic_stack 0
		.amdhsa_system_sgpr_private_segment_wavefront_offset 1
		.amdhsa_system_sgpr_workgroup_id_x 1
		.amdhsa_system_sgpr_workgroup_id_y 0
		.amdhsa_system_sgpr_workgroup_id_z 0
		.amdhsa_system_sgpr_workgroup_info 0
		.amdhsa_system_vgpr_workitem_id 0
		.amdhsa_next_free_vgpr 68
		.amdhsa_next_free_sgpr 45
		.amdhsa_accum_offset 68
		.amdhsa_reserve_vcc 1
		.amdhsa_reserve_flat_scratch 1
		.amdhsa_float_round_mode_32 0
		.amdhsa_float_round_mode_16_64 0
		.amdhsa_float_denorm_mode_32 3
		.amdhsa_float_denorm_mode_16_64 3
		.amdhsa_dx10_clamp 1
		.amdhsa_ieee_mode 1
		.amdhsa_fp16_overflow 0
		.amdhsa_tg_split 0
		.amdhsa_exception_fp_ieee_invalid_op 0
		.amdhsa_exception_fp_denorm_src 0
		.amdhsa_exception_fp_ieee_div_zero 0
		.amdhsa_exception_fp_ieee_overflow 0
		.amdhsa_exception_fp_ieee_underflow 0
		.amdhsa_exception_fp_ieee_inexact 0
		.amdhsa_exception_int_div_zero 0
	.end_amdhsa_kernel
	.section	.text._ZN2at6native29vectorized_elementwise_kernelILi16EZZZNS0_12_GLOBAL__N_119airy_ai_kernel_cudaERNS_18TensorIteratorBaseEENKUlvE_clEvENKUlvE_clEvEUldE_St5arrayIPcLm2EEEEviT0_T1_,"axG",@progbits,_ZN2at6native29vectorized_elementwise_kernelILi16EZZZNS0_12_GLOBAL__N_119airy_ai_kernel_cudaERNS_18TensorIteratorBaseEENKUlvE_clEvENKUlvE_clEvEUldE_St5arrayIPcLm2EEEEviT0_T1_,comdat
.Lfunc_end2:
	.size	_ZN2at6native29vectorized_elementwise_kernelILi16EZZZNS0_12_GLOBAL__N_119airy_ai_kernel_cudaERNS_18TensorIteratorBaseEENKUlvE_clEvENKUlvE_clEvEUldE_St5arrayIPcLm2EEEEviT0_T1_, .Lfunc_end2-_ZN2at6native29vectorized_elementwise_kernelILi16EZZZNS0_12_GLOBAL__N_119airy_ai_kernel_cudaERNS_18TensorIteratorBaseEENKUlvE_clEvENKUlvE_clEvEUldE_St5arrayIPcLm2EEEEviT0_T1_
                                        ; -- End function
	.section	.AMDGPU.csdata,"",@progbits
; Kernel info:
; codeLenInByte = 188
; NumSgprs: 51
; NumVgprs: 68
; NumAgprs: 0
; TotalNumVgprs: 68
; ScratchSize: 8
; MemoryBound: 0
; FloatMode: 240
; IeeeMode: 1
; LDSByteSize: 0 bytes/workgroup (compile time only)
; SGPRBlocks: 6
; VGPRBlocks: 8
; NumSGPRsForWavesPerEU: 51
; NumVGPRsForWavesPerEU: 68
; AccumOffset: 68
; Occupancy: 7
; WaveLimiterHint : 0
; COMPUTE_PGM_RSRC2:SCRATCH_EN: 1
; COMPUTE_PGM_RSRC2:USER_SGPR: 8
; COMPUTE_PGM_RSRC2:TRAP_HANDLER: 0
; COMPUTE_PGM_RSRC2:TGID_X_EN: 1
; COMPUTE_PGM_RSRC2:TGID_Y_EN: 0
; COMPUTE_PGM_RSRC2:TGID_Z_EN: 0
; COMPUTE_PGM_RSRC2:TIDIG_COMP_CNT: 0
; COMPUTE_PGM_RSRC3_GFX90A:ACCUM_OFFSET: 16
; COMPUTE_PGM_RSRC3_GFX90A:TG_SPLIT: 0
	.section	.text._ZN2at6native29vectorized_elementwise_kernelILi8EZZZNS0_12_GLOBAL__N_119airy_ai_kernel_cudaERNS_18TensorIteratorBaseEENKUlvE_clEvENKUlvE_clEvEUldE_St5arrayIPcLm2EEEEviT0_T1_,"axG",@progbits,_ZN2at6native29vectorized_elementwise_kernelILi8EZZZNS0_12_GLOBAL__N_119airy_ai_kernel_cudaERNS_18TensorIteratorBaseEENKUlvE_clEvENKUlvE_clEvEUldE_St5arrayIPcLm2EEEEviT0_T1_,comdat
	.globl	_ZN2at6native29vectorized_elementwise_kernelILi8EZZZNS0_12_GLOBAL__N_119airy_ai_kernel_cudaERNS_18TensorIteratorBaseEENKUlvE_clEvENKUlvE_clEvEUldE_St5arrayIPcLm2EEEEviT0_T1_ ; -- Begin function _ZN2at6native29vectorized_elementwise_kernelILi8EZZZNS0_12_GLOBAL__N_119airy_ai_kernel_cudaERNS_18TensorIteratorBaseEENKUlvE_clEvENKUlvE_clEvEUldE_St5arrayIPcLm2EEEEviT0_T1_
	.p2align	8
	.type	_ZN2at6native29vectorized_elementwise_kernelILi8EZZZNS0_12_GLOBAL__N_119airy_ai_kernel_cudaERNS_18TensorIteratorBaseEENKUlvE_clEvENKUlvE_clEvEUldE_St5arrayIPcLm2EEEEviT0_T1_,@function
_ZN2at6native29vectorized_elementwise_kernelILi8EZZZNS0_12_GLOBAL__N_119airy_ai_kernel_cudaERNS_18TensorIteratorBaseEENKUlvE_clEvENKUlvE_clEvEUldE_St5arrayIPcLm2EEEEviT0_T1_: ; @_ZN2at6native29vectorized_elementwise_kernelILi8EZZZNS0_12_GLOBAL__N_119airy_ai_kernel_cudaERNS_18TensorIteratorBaseEENKUlvE_clEvENKUlvE_clEvEUldE_St5arrayIPcLm2EEEEviT0_T1_
; %bb.0:
	s_add_u32 flat_scratch_lo, s6, s9
	s_load_dword s6, s[4:5], 0x0
	s_load_dwordx4 s[40:43], s[4:5], 0x8
	s_addc_u32 flat_scratch_hi, s7, 0
	s_add_u32 s0, s0, s9
	s_addc_u32 s1, s1, 0
	s_lshl_b32 s4, s8, 10
	s_waitcnt lgkmcnt(0)
	s_sub_i32 s44, s6, s4
	s_mov_b32 s33, s8
	v_mov_b32_e32 v41, v0
	s_cmpk_gt_i32 s44, 0x3ff
	s_mov_b64 s[4:5], -1
	s_mov_b32 s32, 0
	s_cbranch_scc1 .LBB3_3
; %bb.1:
	s_andn2_b64 vcc, exec, s[4:5]
	s_cbranch_vccz .LBB3_4
.LBB3_2:
	s_endpgm
.LBB3_3:
	s_mov_b32 s12, s33
	v_mov_b32_e32 v31, v41
	v_mov_b32_e32 v0, s40
	v_mov_b32_e32 v1, s41
	v_mov_b32_e32 v2, s42
	v_mov_b32_e32 v3, s43
	s_getpc_b64 s[4:5]
	s_add_u32 s4, s4, _ZN2at6native25elementwise_kernel_helperILb0EZZZNS0_12_GLOBAL__N_119airy_ai_kernel_cudaERNS_18TensorIteratorBaseEENKUlvE_clEvENKUlvE_clEvEUldE_NS0_6memory8policies10vectorizedILi4ESt5arrayIPcLm2EELi4EEEEEvT0_T1_@rel32@lo+4
	s_addc_u32 s5, s5, _ZN2at6native25elementwise_kernel_helperILb0EZZZNS0_12_GLOBAL__N_119airy_ai_kernel_cudaERNS_18TensorIteratorBaseEENKUlvE_clEvENKUlvE_clEvEUldE_NS0_6memory8policies10vectorizedILi4ESt5arrayIPcLm2EELi4EEEEEvT0_T1_@rel32@hi+12
	s_swappc_b64 s[30:31], s[4:5]
	s_cbranch_execnz .LBB3_2
.LBB3_4:
	s_mov_b32 s12, s33
	v_mov_b32_e32 v31, v41
	v_mov_b32_e32 v0, s40
	;; [unrolled: 1-line block ×6, first 2 shown]
	s_getpc_b64 s[4:5]
	s_add_u32 s4, s4, _ZN2at6native25elementwise_kernel_helperILb0EZZZNS0_12_GLOBAL__N_119airy_ai_kernel_cudaERNS_18TensorIteratorBaseEENKUlvE_clEvENKUlvE_clEvEUldE_NS0_6memory8policies11unroll_baseILi256ESt5arrayIPcLm2EE23TrivialOffsetCalculatorILi1EjESF_NS8_15LoadWithoutCastENS8_16StoreWithoutCastELi4ELi1EEEEEvT0_T1_@rel32@lo+4
	s_addc_u32 s5, s5, _ZN2at6native25elementwise_kernel_helperILb0EZZZNS0_12_GLOBAL__N_119airy_ai_kernel_cudaERNS_18TensorIteratorBaseEENKUlvE_clEvENKUlvE_clEvEUldE_NS0_6memory8policies11unroll_baseILi256ESt5arrayIPcLm2EE23TrivialOffsetCalculatorILi1EjESF_NS8_15LoadWithoutCastENS8_16StoreWithoutCastELi4ELi1EEEEEvT0_T1_@rel32@hi+12
	s_swappc_b64 s[30:31], s[4:5]
	s_endpgm
	.section	.rodata,"a",@progbits
	.p2align	6, 0x0
	.amdhsa_kernel _ZN2at6native29vectorized_elementwise_kernelILi8EZZZNS0_12_GLOBAL__N_119airy_ai_kernel_cudaERNS_18TensorIteratorBaseEENKUlvE_clEvENKUlvE_clEvEUldE_St5arrayIPcLm2EEEEviT0_T1_
		.amdhsa_group_segment_fixed_size 0
		.amdhsa_private_segment_fixed_size 8
		.amdhsa_kernarg_size 24
		.amdhsa_user_sgpr_count 8
		.amdhsa_user_sgpr_private_segment_buffer 1
		.amdhsa_user_sgpr_dispatch_ptr 0
		.amdhsa_user_sgpr_queue_ptr 0
		.amdhsa_user_sgpr_kernarg_segment_ptr 1
		.amdhsa_user_sgpr_dispatch_id 0
		.amdhsa_user_sgpr_flat_scratch_init 1
		.amdhsa_user_sgpr_kernarg_preload_length 0
		.amdhsa_user_sgpr_kernarg_preload_offset 0
		.amdhsa_user_sgpr_private_segment_size 0
		.amdhsa_uses_dynamic_stack 0
		.amdhsa_system_sgpr_private_segment_wavefront_offset 1
		.amdhsa_system_sgpr_workgroup_id_x 1
		.amdhsa_system_sgpr_workgroup_id_y 0
		.amdhsa_system_sgpr_workgroup_id_z 0
		.amdhsa_system_sgpr_workgroup_info 0
		.amdhsa_system_vgpr_workitem_id 0
		.amdhsa_next_free_vgpr 68
		.amdhsa_next_free_sgpr 45
		.amdhsa_accum_offset 68
		.amdhsa_reserve_vcc 1
		.amdhsa_reserve_flat_scratch 1
		.amdhsa_float_round_mode_32 0
		.amdhsa_float_round_mode_16_64 0
		.amdhsa_float_denorm_mode_32 3
		.amdhsa_float_denorm_mode_16_64 3
		.amdhsa_dx10_clamp 1
		.amdhsa_ieee_mode 1
		.amdhsa_fp16_overflow 0
		.amdhsa_tg_split 0
		.amdhsa_exception_fp_ieee_invalid_op 0
		.amdhsa_exception_fp_denorm_src 0
		.amdhsa_exception_fp_ieee_div_zero 0
		.amdhsa_exception_fp_ieee_overflow 0
		.amdhsa_exception_fp_ieee_underflow 0
		.amdhsa_exception_fp_ieee_inexact 0
		.amdhsa_exception_int_div_zero 0
	.end_amdhsa_kernel
	.section	.text._ZN2at6native29vectorized_elementwise_kernelILi8EZZZNS0_12_GLOBAL__N_119airy_ai_kernel_cudaERNS_18TensorIteratorBaseEENKUlvE_clEvENKUlvE_clEvEUldE_St5arrayIPcLm2EEEEviT0_T1_,"axG",@progbits,_ZN2at6native29vectorized_elementwise_kernelILi8EZZZNS0_12_GLOBAL__N_119airy_ai_kernel_cudaERNS_18TensorIteratorBaseEENKUlvE_clEvENKUlvE_clEvEUldE_St5arrayIPcLm2EEEEviT0_T1_,comdat
.Lfunc_end3:
	.size	_ZN2at6native29vectorized_elementwise_kernelILi8EZZZNS0_12_GLOBAL__N_119airy_ai_kernel_cudaERNS_18TensorIteratorBaseEENKUlvE_clEvENKUlvE_clEvEUldE_St5arrayIPcLm2EEEEviT0_T1_, .Lfunc_end3-_ZN2at6native29vectorized_elementwise_kernelILi8EZZZNS0_12_GLOBAL__N_119airy_ai_kernel_cudaERNS_18TensorIteratorBaseEENKUlvE_clEvENKUlvE_clEvEUldE_St5arrayIPcLm2EEEEviT0_T1_
                                        ; -- End function
	.section	.AMDGPU.csdata,"",@progbits
; Kernel info:
; codeLenInByte = 188
; NumSgprs: 51
; NumVgprs: 68
; NumAgprs: 0
; TotalNumVgprs: 68
; ScratchSize: 8
; MemoryBound: 0
; FloatMode: 240
; IeeeMode: 1
; LDSByteSize: 0 bytes/workgroup (compile time only)
; SGPRBlocks: 6
; VGPRBlocks: 8
; NumSGPRsForWavesPerEU: 51
; NumVGPRsForWavesPerEU: 68
; AccumOffset: 68
; Occupancy: 7
; WaveLimiterHint : 0
; COMPUTE_PGM_RSRC2:SCRATCH_EN: 1
; COMPUTE_PGM_RSRC2:USER_SGPR: 8
; COMPUTE_PGM_RSRC2:TRAP_HANDLER: 0
; COMPUTE_PGM_RSRC2:TGID_X_EN: 1
; COMPUTE_PGM_RSRC2:TGID_Y_EN: 0
; COMPUTE_PGM_RSRC2:TGID_Z_EN: 0
; COMPUTE_PGM_RSRC2:TIDIG_COMP_CNT: 0
; COMPUTE_PGM_RSRC3_GFX90A:ACCUM_OFFSET: 16
; COMPUTE_PGM_RSRC3_GFX90A:TG_SPLIT: 0
	.section	.text._ZN2at6native29vectorized_elementwise_kernelILi4EZZZNS0_12_GLOBAL__N_119airy_ai_kernel_cudaERNS_18TensorIteratorBaseEENKUlvE_clEvENKUlvE_clEvEUldE_St5arrayIPcLm2EEEEviT0_T1_,"axG",@progbits,_ZN2at6native29vectorized_elementwise_kernelILi4EZZZNS0_12_GLOBAL__N_119airy_ai_kernel_cudaERNS_18TensorIteratorBaseEENKUlvE_clEvENKUlvE_clEvEUldE_St5arrayIPcLm2EEEEviT0_T1_,comdat
	.globl	_ZN2at6native29vectorized_elementwise_kernelILi4EZZZNS0_12_GLOBAL__N_119airy_ai_kernel_cudaERNS_18TensorIteratorBaseEENKUlvE_clEvENKUlvE_clEvEUldE_St5arrayIPcLm2EEEEviT0_T1_ ; -- Begin function _ZN2at6native29vectorized_elementwise_kernelILi4EZZZNS0_12_GLOBAL__N_119airy_ai_kernel_cudaERNS_18TensorIteratorBaseEENKUlvE_clEvENKUlvE_clEvEUldE_St5arrayIPcLm2EEEEviT0_T1_
	.p2align	8
	.type	_ZN2at6native29vectorized_elementwise_kernelILi4EZZZNS0_12_GLOBAL__N_119airy_ai_kernel_cudaERNS_18TensorIteratorBaseEENKUlvE_clEvENKUlvE_clEvEUldE_St5arrayIPcLm2EEEEviT0_T1_,@function
_ZN2at6native29vectorized_elementwise_kernelILi4EZZZNS0_12_GLOBAL__N_119airy_ai_kernel_cudaERNS_18TensorIteratorBaseEENKUlvE_clEvENKUlvE_clEvEUldE_St5arrayIPcLm2EEEEviT0_T1_: ; @_ZN2at6native29vectorized_elementwise_kernelILi4EZZZNS0_12_GLOBAL__N_119airy_ai_kernel_cudaERNS_18TensorIteratorBaseEENKUlvE_clEvENKUlvE_clEvEUldE_St5arrayIPcLm2EEEEviT0_T1_
; %bb.0:
	s_add_u32 flat_scratch_lo, s6, s9
	s_load_dword s6, s[4:5], 0x0
	s_load_dwordx4 s[40:43], s[4:5], 0x8
	s_addc_u32 flat_scratch_hi, s7, 0
	s_add_u32 s0, s0, s9
	s_addc_u32 s1, s1, 0
	s_lshl_b32 s4, s8, 10
	s_waitcnt lgkmcnt(0)
	s_sub_i32 s44, s6, s4
	s_mov_b32 s33, s8
	v_mov_b32_e32 v41, v0
	s_cmpk_gt_i32 s44, 0x3ff
	s_mov_b64 s[4:5], -1
	s_mov_b32 s32, 0
	s_cbranch_scc1 .LBB4_3
; %bb.1:
	s_andn2_b64 vcc, exec, s[4:5]
	s_cbranch_vccz .LBB4_4
.LBB4_2:
	s_endpgm
.LBB4_3:
	s_mov_b32 s12, s33
	v_mov_b32_e32 v31, v41
	v_mov_b32_e32 v0, s40
	;; [unrolled: 1-line block ×5, first 2 shown]
	s_getpc_b64 s[4:5]
	s_add_u32 s4, s4, _ZN2at6native25elementwise_kernel_helperILb0EZZZNS0_12_GLOBAL__N_119airy_ai_kernel_cudaERNS_18TensorIteratorBaseEENKUlvE_clEvENKUlvE_clEvEUldE_NS0_6memory8policies10vectorizedILi4ESt5arrayIPcLm2EELi4EEEEEvT0_T1_@rel32@lo+4
	s_addc_u32 s5, s5, _ZN2at6native25elementwise_kernel_helperILb0EZZZNS0_12_GLOBAL__N_119airy_ai_kernel_cudaERNS_18TensorIteratorBaseEENKUlvE_clEvENKUlvE_clEvEUldE_NS0_6memory8policies10vectorizedILi4ESt5arrayIPcLm2EELi4EEEEEvT0_T1_@rel32@hi+12
	s_swappc_b64 s[30:31], s[4:5]
	s_cbranch_execnz .LBB4_2
.LBB4_4:
	s_mov_b32 s12, s33
	v_mov_b32_e32 v31, v41
	v_mov_b32_e32 v0, s40
	;; [unrolled: 1-line block ×6, first 2 shown]
	s_getpc_b64 s[4:5]
	s_add_u32 s4, s4, _ZN2at6native25elementwise_kernel_helperILb0EZZZNS0_12_GLOBAL__N_119airy_ai_kernel_cudaERNS_18TensorIteratorBaseEENKUlvE_clEvENKUlvE_clEvEUldE_NS0_6memory8policies11unroll_baseILi256ESt5arrayIPcLm2EE23TrivialOffsetCalculatorILi1EjESF_NS8_15LoadWithoutCastENS8_16StoreWithoutCastELi4ELi1EEEEEvT0_T1_@rel32@lo+4
	s_addc_u32 s5, s5, _ZN2at6native25elementwise_kernel_helperILb0EZZZNS0_12_GLOBAL__N_119airy_ai_kernel_cudaERNS_18TensorIteratorBaseEENKUlvE_clEvENKUlvE_clEvEUldE_NS0_6memory8policies11unroll_baseILi256ESt5arrayIPcLm2EE23TrivialOffsetCalculatorILi1EjESF_NS8_15LoadWithoutCastENS8_16StoreWithoutCastELi4ELi1EEEEEvT0_T1_@rel32@hi+12
	s_swappc_b64 s[30:31], s[4:5]
	s_endpgm
	.section	.rodata,"a",@progbits
	.p2align	6, 0x0
	.amdhsa_kernel _ZN2at6native29vectorized_elementwise_kernelILi4EZZZNS0_12_GLOBAL__N_119airy_ai_kernel_cudaERNS_18TensorIteratorBaseEENKUlvE_clEvENKUlvE_clEvEUldE_St5arrayIPcLm2EEEEviT0_T1_
		.amdhsa_group_segment_fixed_size 0
		.amdhsa_private_segment_fixed_size 8
		.amdhsa_kernarg_size 24
		.amdhsa_user_sgpr_count 8
		.amdhsa_user_sgpr_private_segment_buffer 1
		.amdhsa_user_sgpr_dispatch_ptr 0
		.amdhsa_user_sgpr_queue_ptr 0
		.amdhsa_user_sgpr_kernarg_segment_ptr 1
		.amdhsa_user_sgpr_dispatch_id 0
		.amdhsa_user_sgpr_flat_scratch_init 1
		.amdhsa_user_sgpr_kernarg_preload_length 0
		.amdhsa_user_sgpr_kernarg_preload_offset 0
		.amdhsa_user_sgpr_private_segment_size 0
		.amdhsa_uses_dynamic_stack 0
		.amdhsa_system_sgpr_private_segment_wavefront_offset 1
		.amdhsa_system_sgpr_workgroup_id_x 1
		.amdhsa_system_sgpr_workgroup_id_y 0
		.amdhsa_system_sgpr_workgroup_id_z 0
		.amdhsa_system_sgpr_workgroup_info 0
		.amdhsa_system_vgpr_workitem_id 0
		.amdhsa_next_free_vgpr 68
		.amdhsa_next_free_sgpr 45
		.amdhsa_accum_offset 68
		.amdhsa_reserve_vcc 1
		.amdhsa_reserve_flat_scratch 1
		.amdhsa_float_round_mode_32 0
		.amdhsa_float_round_mode_16_64 0
		.amdhsa_float_denorm_mode_32 3
		.amdhsa_float_denorm_mode_16_64 3
		.amdhsa_dx10_clamp 1
		.amdhsa_ieee_mode 1
		.amdhsa_fp16_overflow 0
		.amdhsa_tg_split 0
		.amdhsa_exception_fp_ieee_invalid_op 0
		.amdhsa_exception_fp_denorm_src 0
		.amdhsa_exception_fp_ieee_div_zero 0
		.amdhsa_exception_fp_ieee_overflow 0
		.amdhsa_exception_fp_ieee_underflow 0
		.amdhsa_exception_fp_ieee_inexact 0
		.amdhsa_exception_int_div_zero 0
	.end_amdhsa_kernel
	.section	.text._ZN2at6native29vectorized_elementwise_kernelILi4EZZZNS0_12_GLOBAL__N_119airy_ai_kernel_cudaERNS_18TensorIteratorBaseEENKUlvE_clEvENKUlvE_clEvEUldE_St5arrayIPcLm2EEEEviT0_T1_,"axG",@progbits,_ZN2at6native29vectorized_elementwise_kernelILi4EZZZNS0_12_GLOBAL__N_119airy_ai_kernel_cudaERNS_18TensorIteratorBaseEENKUlvE_clEvENKUlvE_clEvEUldE_St5arrayIPcLm2EEEEviT0_T1_,comdat
.Lfunc_end4:
	.size	_ZN2at6native29vectorized_elementwise_kernelILi4EZZZNS0_12_GLOBAL__N_119airy_ai_kernel_cudaERNS_18TensorIteratorBaseEENKUlvE_clEvENKUlvE_clEvEUldE_St5arrayIPcLm2EEEEviT0_T1_, .Lfunc_end4-_ZN2at6native29vectorized_elementwise_kernelILi4EZZZNS0_12_GLOBAL__N_119airy_ai_kernel_cudaERNS_18TensorIteratorBaseEENKUlvE_clEvENKUlvE_clEvEUldE_St5arrayIPcLm2EEEEviT0_T1_
                                        ; -- End function
	.section	.AMDGPU.csdata,"",@progbits
; Kernel info:
; codeLenInByte = 188
; NumSgprs: 51
; NumVgprs: 68
; NumAgprs: 0
; TotalNumVgprs: 68
; ScratchSize: 8
; MemoryBound: 0
; FloatMode: 240
; IeeeMode: 1
; LDSByteSize: 0 bytes/workgroup (compile time only)
; SGPRBlocks: 6
; VGPRBlocks: 8
; NumSGPRsForWavesPerEU: 51
; NumVGPRsForWavesPerEU: 68
; AccumOffset: 68
; Occupancy: 7
; WaveLimiterHint : 0
; COMPUTE_PGM_RSRC2:SCRATCH_EN: 1
; COMPUTE_PGM_RSRC2:USER_SGPR: 8
; COMPUTE_PGM_RSRC2:TRAP_HANDLER: 0
; COMPUTE_PGM_RSRC2:TGID_X_EN: 1
; COMPUTE_PGM_RSRC2:TGID_Y_EN: 0
; COMPUTE_PGM_RSRC2:TGID_Z_EN: 0
; COMPUTE_PGM_RSRC2:TIDIG_COMP_CNT: 0
; COMPUTE_PGM_RSRC3_GFX90A:ACCUM_OFFSET: 16
; COMPUTE_PGM_RSRC3_GFX90A:TG_SPLIT: 0
	.section	.text._ZN2at6native29vectorized_elementwise_kernelILi2EZZZNS0_12_GLOBAL__N_119airy_ai_kernel_cudaERNS_18TensorIteratorBaseEENKUlvE_clEvENKUlvE_clEvEUldE_St5arrayIPcLm2EEEEviT0_T1_,"axG",@progbits,_ZN2at6native29vectorized_elementwise_kernelILi2EZZZNS0_12_GLOBAL__N_119airy_ai_kernel_cudaERNS_18TensorIteratorBaseEENKUlvE_clEvENKUlvE_clEvEUldE_St5arrayIPcLm2EEEEviT0_T1_,comdat
	.globl	_ZN2at6native29vectorized_elementwise_kernelILi2EZZZNS0_12_GLOBAL__N_119airy_ai_kernel_cudaERNS_18TensorIteratorBaseEENKUlvE_clEvENKUlvE_clEvEUldE_St5arrayIPcLm2EEEEviT0_T1_ ; -- Begin function _ZN2at6native29vectorized_elementwise_kernelILi2EZZZNS0_12_GLOBAL__N_119airy_ai_kernel_cudaERNS_18TensorIteratorBaseEENKUlvE_clEvENKUlvE_clEvEUldE_St5arrayIPcLm2EEEEviT0_T1_
	.p2align	8
	.type	_ZN2at6native29vectorized_elementwise_kernelILi2EZZZNS0_12_GLOBAL__N_119airy_ai_kernel_cudaERNS_18TensorIteratorBaseEENKUlvE_clEvENKUlvE_clEvEUldE_St5arrayIPcLm2EEEEviT0_T1_,@function
_ZN2at6native29vectorized_elementwise_kernelILi2EZZZNS0_12_GLOBAL__N_119airy_ai_kernel_cudaERNS_18TensorIteratorBaseEENKUlvE_clEvENKUlvE_clEvEUldE_St5arrayIPcLm2EEEEviT0_T1_: ; @_ZN2at6native29vectorized_elementwise_kernelILi2EZZZNS0_12_GLOBAL__N_119airy_ai_kernel_cudaERNS_18TensorIteratorBaseEENKUlvE_clEvENKUlvE_clEvEUldE_St5arrayIPcLm2EEEEviT0_T1_
; %bb.0:
	s_add_u32 flat_scratch_lo, s6, s9
	s_load_dword s6, s[4:5], 0x0
	s_load_dwordx4 s[16:19], s[4:5], 0x8
	s_addc_u32 flat_scratch_hi, s7, 0
	s_add_u32 s0, s0, s9
	s_addc_u32 s1, s1, 0
	s_lshl_b32 s4, s8, 10
	s_waitcnt lgkmcnt(0)
	s_sub_i32 s9, s6, s4
	s_cmpk_gt_i32 s9, 0x3ff
	s_mov_b64 s[6:7], -1
	s_mov_b32 s32, 0
	s_cbranch_scc0 .LBB5_14
; %bb.1:
	s_ashr_i32 s5, s4, 31
	s_lshl_b64 s[6:7], s[4:5], 3
	s_add_u32 s4, s18, s6
	s_addc_u32 s5, s19, s7
	v_lshlrev_b32_e32 v1, 4, v0
	v_mov_b32_e32 v2, s5
	v_add_co_u32_e32 v3, vcc, s4, v1
	v_addc_co_u32_e32 v4, vcc, 0, v2, vcc
	v_add_co_u32_e32 v2, vcc, 0x1000, v3
	global_load_dwordx4 v[10:13], v1, s[4:5]
	v_addc_co_u32_e32 v3, vcc, 0, v4, vcc
	global_load_dwordx4 v[6:9], v[2:3], off
	s_mov_b32 s10, 0
	v_mov_b32_e32 v4, 0
	s_mov_b32 s11, 0x7ff00000
	v_mov_b32_e32 v5, 0x7ff80000
	v_pk_mov_b32 v[2:3], v[4:5], v[4:5] op_sel:[0,1]
	s_waitcnt vmcnt(1)
	v_cmp_neq_f64_e64 s[4:5], |v[10:11]|, s[10:11]
	s_and_saveexec_b64 s[12:13], s[4:5]
	s_cbranch_execz .LBB5_25
; %bb.2:
	s_mov_b32 s4, 0x872b020c
	s_mov_b32 s5, 0x4059f916
	v_cmp_nlt_f64_e32 vcc, s[4:5], v[10:11]
	v_pk_mov_b32 v[2:3], 0, 0
	s_and_saveexec_b64 s[14:15], vcc
	s_cbranch_execz .LBB5_24
; %bb.3:
	s_mov_b32 s5, 0xc000b851
	s_mov_b32 s4, 0xeb851eb8
	v_cmp_ngt_f64_e32 vcc, s[4:5], v[10:11]
	s_and_saveexec_b64 s[20:21], vcc
	s_xor_b64 s[20:21], exec, s[20:21]
	s_cbranch_execz .LBB5_11
; %bb.4:
	s_mov_b32 s5, 0x4000b851
	v_cmp_nle_f64_e64 s[22:23], s[4:5], v[10:11]
	v_cmp_le_f64_e32 vcc, s[4:5], v[10:11]
	v_pk_mov_b32 v[2:3], 0, 0
	s_mov_b64 s[4:5], s[22:23]
	s_and_saveexec_b64 s[24:25], vcc
	s_cbranch_execz .LBB5_6
; %bb.5:
	s_mov_b32 s4, 0
	s_brev_b32 s5, 8
	v_cmp_gt_f64_e32 vcc, s[4:5], v[10:11]
	v_cndmask_b32_e64 v2, 0, 1, vcc
	v_lshlrev_b32_e32 v2, 8, v2
	v_ldexp_f64 v[2:3], v[10:11], v2
	v_rsq_f64_e32 v[14:15], v[2:3]
	v_mov_b32_e32 v28, 0xffffff80
	v_mov_b32_e32 v29, 0x260
	v_add_f64 v[16:17], v[10:11], v[10:11]
	v_mul_f64 v[18:19], v[2:3], v[14:15]
	v_mul_f64 v[14:15], v[14:15], 0.5
	v_fma_f64 v[20:21], -v[14:15], v[18:19], 0.5
	v_fmac_f64_e32 v[18:19], v[18:19], v[20:21]
	v_fma_f64 v[22:23], -v[18:19], v[18:19], v[2:3]
	v_fmac_f64_e32 v[14:15], v[14:15], v[20:21]
	v_fmac_f64_e32 v[18:19], v[22:23], v[14:15]
	v_fma_f64 v[20:21], -v[18:19], v[18:19], v[2:3]
	v_fmac_f64_e32 v[18:19], v[20:21], v[14:15]
	v_cndmask_b32_e32 v14, 0, v28, vcc
	v_ldexp_f64 v[14:15], v[18:19], v14
	v_cmp_class_f64_e32 vcc, v[2:3], v29
	v_cndmask_b32_e32 v3, v15, v3, vcc
	v_cndmask_b32_e32 v2, v14, v2, vcc
	s_mov_b32 s26, 0
	v_mul_f64 v[14:15], v[16:17], v[2:3]
	s_mov_b32 s27, 0x40080000
	v_div_scale_f64 v[16:17], s[28:29], s[26:27], s[26:27], v[14:15]
	v_rcp_f64_e32 v[18:19], v[16:17]
	v_fma_f64 v[20:21], -v[16:17], v[18:19], 1.0
	v_fmac_f64_e32 v[18:19], v[18:19], v[20:21]
	v_fma_f64 v[20:21], -v[16:17], v[18:19], 1.0
	v_fmac_f64_e32 v[18:19], v[18:19], v[20:21]
	v_div_scale_f64 v[20:21], vcc, v[14:15], s[26:27], v[14:15]
	v_mul_f64 v[22:23], v[20:21], v[18:19]
	v_fma_f64 v[16:17], -v[16:17], v[22:23], v[20:21]
	s_nop 1
	v_div_fmas_f64 v[16:17], v[16:17], v[18:19], v[22:23]
	v_div_fixup_f64 v[14:15], v[16:17], s[26:27], v[14:15]
	v_div_scale_f64 v[16:17], s[26:27], v[14:15], v[14:15], 1.0
	v_rcp_f64_e32 v[18:19], v[16:17]
	v_fma_f64 v[20:21], -v[16:17], v[18:19], 1.0
	v_fmac_f64_e32 v[18:19], v[18:19], v[20:21]
	v_fma_f64 v[20:21], -v[16:17], v[18:19], 1.0
	v_fmac_f64_e32 v[18:19], v[18:19], v[20:21]
	v_div_scale_f64 v[20:21], vcc, 1.0, v[14:15], 1.0
	v_mul_f64 v[22:23], v[20:21], v[18:19]
	v_fma_f64 v[16:17], -v[16:17], v[22:23], v[20:21]
	v_mov_b32_e32 v20, 0x871a9067
	s_nop 0
	v_div_fmas_f64 v[16:17], v[16:17], v[18:19], v[22:23]
	v_div_fixup_f64 v[16:17], v[16:17], v[14:15], 1.0
	v_mov_b32_e32 v18, 0x2537b658
	v_mov_b32_e32 v19, 0x3fd62dae
	v_fmac_f64_e32 v[18:19], 0, v[16:17]
	v_mov_b32_e32 v21, 0x402803e3
	v_fmac_f64_e32 v[20:21], v[16:17], v[18:19]
	v_mov_b32_e32 v18, 0xde2e1e3
	v_mov_b32_e32 v19, 0x405311e5
	v_fmac_f64_e32 v[18:19], v[16:17], v[20:21]
	v_mov_b32_e32 v20, 0xee40073c
	;; [unrolled: 3-line block ×12, first 2 shown]
	v_mov_b32_e32 v21, 0x402c311b
	v_fmac_f64_e32 v[20:21], v[16:17], v[22:23]
	v_fma_f64 v[20:21], v[16:17], v[20:21], 1.0
	v_fma_f64 v[16:17], v[16:17], v[18:19], 1.0
	v_div_scale_f64 v[18:19], s[26:27], v[20:21], v[20:21], v[16:17]
	v_rcp_f64_e32 v[22:23], v[18:19]
	v_fma_f64 v[24:25], -v[18:19], v[22:23], 1.0
	v_fmac_f64_e32 v[22:23], v[22:23], v[24:25]
	v_fma_f64 v[24:25], -v[18:19], v[22:23], 1.0
	v_fmac_f64_e32 v[22:23], v[22:23], v[24:25]
	v_div_scale_f64 v[24:25], vcc, v[16:17], v[20:21], v[16:17]
	v_mul_f64 v[26:27], v[24:25], v[22:23]
	v_fma_f64 v[18:19], -v[18:19], v[26:27], v[24:25]
	s_nop 1
	v_div_fmas_f64 v[18:19], v[18:19], v[22:23], v[26:27]
	v_cmp_gt_f64_e32 vcc, s[4:5], v[2:3]
	v_div_fixup_f64 v[16:17], v[18:19], v[20:21], v[16:17]
	v_cndmask_b32_e64 v18, 0, 1, vcc
	v_lshlrev_b32_e32 v18, 8, v18
	v_ldexp_f64 v[2:3], v[2:3], v18
	v_rsq_f64_e32 v[18:19], v[2:3]
	s_mov_b32 s4, 0x50429b6d
	s_mov_b32 s5, 0x3fe20dd7
	v_mul_f64 v[16:17], v[16:17], s[4:5]
	v_mul_f64 v[20:21], v[2:3], v[18:19]
	v_mul_f64 v[18:19], v[18:19], 0.5
	v_fma_f64 v[22:23], -v[18:19], v[20:21], 0.5
	v_fmac_f64_e32 v[20:21], v[20:21], v[22:23]
	v_fma_f64 v[24:25], -v[20:21], v[20:21], v[2:3]
	v_fmac_f64_e32 v[18:19], v[18:19], v[22:23]
	v_fmac_f64_e32 v[20:21], v[24:25], v[18:19]
	v_fma_f64 v[22:23], -v[20:21], v[20:21], v[2:3]
	v_fmac_f64_e32 v[20:21], v[22:23], v[18:19]
	v_cndmask_b32_e32 v18, 0, v28, vcc
	s_mov_b32 s4, 0x652b82fe
	v_ldexp_f64 v[18:19], v[20:21], v18
	v_cmp_class_f64_e32 vcc, v[2:3], v29
	s_mov_b32 s5, 0x3ff71547
	v_cndmask_b32_e32 v3, v19, v3, vcc
	v_cndmask_b32_e32 v2, v18, v2, vcc
	v_mul_f64 v[18:19], v[14:15], s[4:5]
	s_mov_b32 s4, 0xfefa39ef
	v_rndne_f64_e32 v[18:19], v[18:19]
	s_mov_b32 s5, 0xbfe62e42
	v_fma_f64 v[20:21], s[4:5], v[18:19], v[14:15]
	s_mov_b32 s4, 0x3b39803f
	s_mov_b32 s5, 0xbc7abc9e
	v_fmac_f64_e32 v[20:21], s[4:5], v[18:19]
	s_mov_b32 s4, 0x6a5dcb37
	v_mov_b32_e32 v22, 0xfca7ab0c
	v_mov_b32_e32 v23, 0x3e928af3
	s_mov_b32 s5, 0x3e5ade15
	v_fmac_f64_e32 v[22:23], s[4:5], v[20:21]
	v_mov_b32_e32 v24, 0x623fde64
	v_mov_b32_e32 v25, 0x3ec71dee
	v_fmac_f64_e32 v[24:25], v[20:21], v[22:23]
	v_mov_b32_e32 v22, 0x7c89e6b0
	v_mov_b32_e32 v23, 0x3efa0199
	;; [unrolled: 3-line block ×8, first 2 shown]
	s_mov_b32 s4, 0
	v_fmac_f64_e32 v[22:23], v[20:21], v[24:25]
	s_mov_b32 s5, 0x40900000
	v_fma_f64 v[22:23], v[20:21], v[22:23], 1.0
	v_cmp_nlt_f64_e32 vcc, s[4:5], v[14:15]
	s_mov_b32 s4, 0
	v_fma_f64 v[20:21], v[20:21], v[22:23], 1.0
	v_cvt_i32_f64_e32 v18, v[18:19]
	s_mov_b32 s5, 0xc090cc00
	v_ldexp_f64 v[18:19], v[20:21], v18
	v_mov_b32_e32 v20, 0x7ff00000
	v_cmp_ngt_f64_e64 s[4:5], s[4:5], v[14:15]
	v_cndmask_b32_e32 v19, v20, v19, vcc
	s_and_b64 vcc, s[4:5], vcc
	v_add_f64 v[2:3], v[2:3], v[2:3]
	v_cndmask_b32_e64 v15, 0, v19, s[4:5]
	v_cndmask_b32_e32 v14, 0, v18, vcc
	v_mul_f64 v[2:3], v[2:3], v[14:15]
	v_div_scale_f64 v[14:15], s[4:5], v[2:3], v[2:3], v[16:17]
	v_rcp_f64_e32 v[18:19], v[14:15]
	s_mov_b32 s4, 0xfd0a823a
	s_mov_b32 s5, 0x4020a402
	v_fma_f64 v[20:21], -v[14:15], v[18:19], 1.0
	v_fmac_f64_e32 v[18:19], v[18:19], v[20:21]
	v_fma_f64 v[20:21], -v[14:15], v[18:19], 1.0
	v_fmac_f64_e32 v[18:19], v[18:19], v[20:21]
	v_div_scale_f64 v[20:21], vcc, v[16:17], v[2:3], v[16:17]
	v_mul_f64 v[22:23], v[20:21], v[18:19]
	v_fma_f64 v[14:15], -v[14:15], v[22:23], v[20:21]
	s_nop 1
	v_div_fmas_f64 v[14:15], v[14:15], v[18:19], v[22:23]
	v_cmp_nlt_f64_e32 vcc, s[4:5], v[10:11]
	s_andn2_b64 s[4:5], s[22:23], exec
	s_and_b64 s[26:27], vcc, exec
	v_div_fixup_f64 v[2:3], v[14:15], v[2:3], v[16:17]
	s_or_b64 s[4:5], s[4:5], s[26:27]
.LBB5_6:
	s_or_b64 exec, exec, s[24:25]
	s_and_saveexec_b64 s[24:25], s[4:5]
	s_cbranch_execz .LBB5_10
; %bb.7:
	v_mov_b32_e32 v22, 0
	v_mul_f64 v[14:15], v[10:11], v[10:11]
	v_mov_b32_e32 v23, 0x3ff00000
	s_mov_b32 s28, 0
	v_mul_f64 v[16:17], v[10:11], v[14:15]
	s_mov_b64 s[26:27], 0
	s_mov_b32 s29, 0x3cb00000
	v_pk_mov_b32 v[20:21], v[22:23], v[22:23] op_sel:[0,1]
	v_pk_mov_b32 v[18:19], v[10:11], v[10:11] op_sel:[0,1]
	;; [unrolled: 1-line block ×3, first 2 shown]
.LBB5_8:                                ; =>This Inner Loop Header: Depth=1
	v_mul_f64 v[22:23], v[16:17], v[22:23]
	v_add_f64 v[24:25], v[20:21], 1.0
	v_mul_f64 v[10:11], v[16:17], v[10:11]
	v_div_scale_f64 v[26:27], s[4:5], v[24:25], v[24:25], v[22:23]
	v_add_f64 v[30:31], v[24:25], 1.0
	v_rcp_f64_e32 v[32:33], v[26:27]
	v_div_scale_f64 v[34:35], s[4:5], v[30:31], v[30:31], v[10:11]
	v_rcp_f64_e32 v[38:39], v[34:35]
	v_fma_f64 v[40:41], -v[26:27], v[32:33], 1.0
	v_fmac_f64_e32 v[32:33], v[32:33], v[40:41]
	v_fma_f64 v[42:43], -v[26:27], v[32:33], 1.0
	v_fma_f64 v[40:41], -v[34:35], v[38:39], 1.0
	v_fmac_f64_e32 v[38:39], v[38:39], v[40:41]
	v_div_scale_f64 v[28:29], vcc, v[22:23], v[24:25], v[22:23]
	v_fmac_f64_e32 v[32:33], v[32:33], v[42:43]
	v_fma_f64 v[40:41], -v[34:35], v[38:39], 1.0
	v_div_scale_f64 v[36:37], s[4:5], v[10:11], v[30:31], v[10:11]
	v_mul_f64 v[42:43], v[28:29], v[32:33]
	v_fmac_f64_e32 v[38:39], v[38:39], v[40:41]
	v_fma_f64 v[26:27], -v[26:27], v[42:43], v[28:29]
	v_mul_f64 v[28:29], v[36:37], v[38:39]
	v_div_fmas_f64 v[26:27], v[26:27], v[32:33], v[42:43]
	v_fma_f64 v[32:33], -v[34:35], v[28:29], v[36:37]
	s_mov_b64 vcc, s[4:5]
	v_div_fixup_f64 v[22:23], v[26:27], v[24:25], v[22:23]
	v_div_fmas_f64 v[24:25], v[32:33], v[38:39], v[28:29]
	v_div_fixup_f64 v[10:11], v[24:25], v[30:31], v[10:11]
	v_div_scale_f64 v[24:25], s[4:5], v[30:31], v[30:31], v[22:23]
	v_add_f64 v[20:21], v[30:31], 1.0
	v_rcp_f64_e32 v[28:29], v[24:25]
	v_div_scale_f64 v[32:33], s[4:5], v[20:21], v[20:21], v[10:11]
	v_rcp_f64_e32 v[36:37], v[32:33]
	v_fma_f64 v[38:39], -v[24:25], v[28:29], 1.0
	v_fmac_f64_e32 v[28:29], v[28:29], v[38:39]
	v_fma_f64 v[40:41], -v[24:25], v[28:29], 1.0
	v_fma_f64 v[38:39], -v[32:33], v[36:37], 1.0
	v_div_scale_f64 v[26:27], vcc, v[22:23], v[30:31], v[22:23]
	v_fmac_f64_e32 v[36:37], v[36:37], v[38:39]
	v_fmac_f64_e32 v[28:29], v[28:29], v[40:41]
	v_fma_f64 v[38:39], -v[32:33], v[36:37], 1.0
	v_mul_f64 v[40:41], v[26:27], v[28:29]
	v_div_scale_f64 v[34:35], s[4:5], v[10:11], v[20:21], v[10:11]
	v_fmac_f64_e32 v[36:37], v[36:37], v[38:39]
	v_fma_f64 v[24:25], -v[24:25], v[40:41], v[26:27]
	v_mul_f64 v[26:27], v[34:35], v[36:37]
	v_div_fmas_f64 v[24:25], v[24:25], v[28:29], v[40:41]
	v_fma_f64 v[28:29], -v[32:33], v[26:27], v[34:35]
	v_div_fixup_f64 v[22:23], v[24:25], v[30:31], v[22:23]
	s_mov_b64 vcc, s[4:5]
	v_div_fmas_f64 v[24:25], v[28:29], v[36:37], v[26:27]
	v_add_f64 v[14:15], v[14:15], v[22:23]
	v_div_fixup_f64 v[10:11], v[24:25], v[20:21], v[10:11]
	v_div_scale_f64 v[24:25], s[4:5], v[14:15], v[14:15], v[22:23]
	v_rcp_f64_e32 v[26:27], v[24:25]
	v_div_scale_f64 v[28:29], vcc, v[22:23], v[14:15], v[22:23]
	v_add_f64 v[18:19], v[18:19], v[10:11]
	v_fma_f64 v[30:31], -v[24:25], v[26:27], 1.0
	v_fmac_f64_e32 v[26:27], v[26:27], v[30:31]
	v_fma_f64 v[30:31], -v[24:25], v[26:27], 1.0
	v_fmac_f64_e32 v[26:27], v[26:27], v[30:31]
	v_mul_f64 v[30:31], v[28:29], v[26:27]
	v_fma_f64 v[24:25], -v[24:25], v[30:31], v[28:29]
	v_div_fmas_f64 v[24:25], v[24:25], v[26:27], v[30:31]
	v_div_fixup_f64 v[24:25], v[24:25], v[14:15], v[22:23]
	v_cmp_ngt_f64_e64 s[4:5], |v[24:25]|, s[28:29]
	s_or_b64 s[26:27], s[4:5], s[26:27]
	s_andn2_b64 exec, exec, s[26:27]
	s_cbranch_execnz .LBB5_8
; %bb.9:
	s_or_b64 exec, exec, s[26:27]
	s_mov_b32 s4, 0x42b70f8b
	s_mov_b32 s5, 0xbfd0907f
	v_mul_f64 v[10:11], v[18:19], s[4:5]
	s_mov_b32 s4, 0x962715b8
	s_mov_b32 s5, 0x3fd6b8c7
	v_fmac_f64_e32 v[10:11], s[4:5], v[14:15]
	v_cndmask_b32_e64 v3, v3, v11, s[22:23]
	v_cndmask_b32_e64 v2, v2, v10, s[22:23]
.LBB5_10:
	s_or_b64 exec, exec, s[24:25]
.LBB5_11:
	s_andn2_saveexec_b64 s[20:21], s[20:21]
	s_cbranch_execz .LBB5_23
; %bb.12:
	s_mov_b32 s4, 0
	s_brev_b32 s5, 9
	v_cmp_lt_f64_e32 vcc, s[4:5], v[10:11]
	v_cndmask_b32_e64 v2, 0, 1, vcc
	v_lshlrev_b32_e32 v2, 8, v2
	v_ldexp_f64 v[2:3], -v[10:11], v2
	v_rsq_f64_e32 v[14:15], v[2:3]
	v_mul_f64 v[10:11], v[10:11], -2.0
	s_mov_b32 s22, 0
	s_mov_b32 s23, 0x40080000
	v_mul_f64 v[16:17], v[2:3], v[14:15]
	v_mul_f64 v[14:15], v[14:15], 0.5
	v_fma_f64 v[18:19], -v[14:15], v[16:17], 0.5
	v_fmac_f64_e32 v[16:17], v[16:17], v[18:19]
	v_fma_f64 v[20:21], -v[16:17], v[16:17], v[2:3]
	v_fmac_f64_e32 v[14:15], v[14:15], v[18:19]
	v_fmac_f64_e32 v[16:17], v[20:21], v[14:15]
	v_fma_f64 v[18:19], -v[16:17], v[16:17], v[2:3]
	v_fmac_f64_e32 v[16:17], v[18:19], v[14:15]
	v_mov_b32_e32 v14, 0xffffff80
	v_cndmask_b32_e32 v14, 0, v14, vcc
	v_ldexp_f64 v[14:15], v[16:17], v14
	v_mov_b32_e32 v16, 0x260
	v_cmp_class_f64_e32 vcc, v[2:3], v16
	v_cndmask_b32_e32 v3, v15, v3, vcc
	v_cndmask_b32_e32 v2, v14, v2, vcc
	v_mul_f64 v[10:11], v[10:11], v[2:3]
	v_div_scale_f64 v[14:15], s[4:5], s[22:23], s[22:23], v[10:11]
	v_rcp_f64_e32 v[16:17], v[14:15]
	s_mov_b32 s25, 0x3fe921fb
	s_mov_b32 s24, 0x54442d18
	s_movk_i32 s4, 0xff80
	v_fma_f64 v[18:19], -v[14:15], v[16:17], 1.0
	v_fmac_f64_e32 v[16:17], v[16:17], v[18:19]
	v_fma_f64 v[18:19], -v[14:15], v[16:17], 1.0
	v_fmac_f64_e32 v[16:17], v[16:17], v[18:19]
	v_div_scale_f64 v[18:19], vcc, v[10:11], s[22:23], v[10:11]
	v_mul_f64 v[20:21], v[18:19], v[16:17]
	v_fma_f64 v[14:15], -v[14:15], v[20:21], v[18:19]
                                        ; implicit-def: $vgpr31
                                        ; implicit-def: $vgpr22_vgpr23
	s_nop 1
	v_div_fmas_f64 v[14:15], v[14:15], v[16:17], v[20:21]
	v_div_fixup_f64 v[18:19], v[14:15], s[22:23], v[10:11]
	s_mov_b32 s22, 0
	v_add_f64 v[10:11], v[18:19], s[24:25]
	s_mov_b32 s23, 0x41d00000
	v_cmp_nlt_f64_e64 s[22:23], |v[10:11]|, s[22:23]
	v_trig_preop_f64 v[28:29], |v[10:11]|, 0
	v_trig_preop_f64 v[26:27], |v[10:11]|, 1
	;; [unrolled: 1-line block ×3, first 2 shown]
                                        ; implicit-def: $vgpr20_vgpr21
	s_and_saveexec_b64 s[26:27], s[22:23]
	s_xor_b64 s[26:27], exec, s[26:27]
	s_cbranch_execz .LBB5_16
; %bb.13:
	s_mov_b32 s28, 0
	s_mov_b32 s29, 0x7b000000
	v_and_b32_e32 v16, 0x7fffffff, v11
	v_ldexp_f64 v[14:15], |v[10:11]|, s4
	v_cmp_ge_f64_e64 vcc, |v[10:11]|, s[28:29]
	v_cndmask_b32_e32 v15, v16, v15, vcc
	v_cndmask_b32_e32 v14, v10, v14, vcc
	v_mul_f64 v[20:21], v[28:29], v[14:15]
	v_mul_f64 v[16:17], v[26:27], v[14:15]
	v_fma_f64 v[22:23], v[28:29], v[14:15], -v[20:21]
	v_add_f64 v[30:31], v[16:17], v[22:23]
	v_add_f64 v[32:33], v[20:21], v[30:31]
	s_mov_b32 s4, 0
	v_ldexp_f64 v[34:35], v[32:33], -2
	s_mov_b32 s5, 0x7ff00000
	v_fract_f64_e32 v[36:37], v[34:35]
	v_cmp_neq_f64_e64 vcc, |v[34:35]|, s[4:5]
	v_cndmask_b32_e32 v35, 0, v37, vcc
	v_cndmask_b32_e32 v34, 0, v36, vcc
	v_add_f64 v[36:37], v[30:31], -v[16:17]
	v_add_f64 v[22:23], v[22:23], -v[36:37]
	;; [unrolled: 1-line block ×4, first 2 shown]
	v_add_f64 v[22:23], v[22:23], v[36:37]
	v_fma_f64 v[16:17], v[26:27], v[14:15], -v[16:17]
	v_mul_f64 v[36:37], v[24:25], v[14:15]
	v_add_f64 v[40:41], v[36:37], v[16:17]
	v_add_f64 v[42:43], v[40:41], v[22:23]
	v_add_f64 v[20:21], v[32:33], -v[20:21]
	v_add_f64 v[32:33], v[42:43], -v[40:41]
	;; [unrolled: 1-line block ×5, first 2 shown]
	v_add_f64 v[22:23], v[22:23], v[32:33]
	v_add_f64 v[32:33], v[40:41], -v[36:37]
	v_add_f64 v[16:17], v[16:17], -v[32:33]
	;; [unrolled: 1-line block ×5, first 2 shown]
	v_add_f64 v[30:31], v[20:21], v[42:43]
	v_add_f64 v[16:17], v[16:17], v[32:33]
	v_add_f64 v[20:21], v[30:31], -v[20:21]
	v_add_f64 v[16:17], v[16:17], v[22:23]
	v_fma_f64 v[14:15], v[24:25], v[14:15], -v[36:37]
	v_add_f64 v[20:21], v[42:43], -v[20:21]
	v_add_f64 v[14:15], v[14:15], v[16:17]
	v_ldexp_f64 v[16:17], v[34:35], 2
	v_add_f64 v[14:15], v[20:21], v[14:15]
	v_add_f64 v[20:21], v[30:31], v[16:17]
	v_mov_b32_e32 v22, 0x40100000
	v_cmp_gt_f64_e32 vcc, 0, v[20:21]
	v_mov_b32_e32 v38, 0
	v_cndmask_b32_e32 v39, 0, v22, vcc
	v_add_f64 v[16:17], v[16:17], v[38:39]
	v_add_f64 v[20:21], v[30:31], v[16:17]
	v_cvt_i32_f64_e32 v22, v[20:21]
	v_cvt_f64_i32_e32 v[20:21], v22
	v_add_f64 v[16:17], v[16:17], -v[20:21]
	v_add_f64 v[20:21], v[30:31], v[16:17]
	v_add_f64 v[16:17], v[20:21], -v[16:17]
	v_add_f64 v[16:17], v[30:31], -v[16:17]
	v_add_f64 v[14:15], v[14:15], v[16:17]
	v_cmp_le_f64_e32 vcc, 0.5, v[20:21]
	v_mov_b32_e32 v16, 0x3ff00000
	v_cndmask_b32_e32 v39, 0, v16, vcc
	v_add_f64 v[16:17], v[20:21], -v[38:39]
	v_add_f64 v[20:21], v[16:17], v[14:15]
	v_addc_co_u32_e64 v31, s[4:5], 0, v22, vcc
	v_add_f64 v[16:17], v[20:21], -v[16:17]
	s_mov_b32 s25, 0x3ff921fb
	v_add_f64 v[14:15], v[14:15], -v[16:17]
	v_mul_f64 v[16:17], v[20:21], s[24:25]
	s_mov_b32 s4, 0x33145c07
	v_fma_f64 v[22:23], v[20:21], s[24:25], -v[16:17]
	s_mov_b32 s5, 0x3c91a626
	v_fmac_f64_e32 v[22:23], s[4:5], v[20:21]
	v_fmac_f64_e32 v[22:23], s[24:25], v[14:15]
	v_add_f64 v[20:21], v[16:17], v[22:23]
	v_add_f64 v[14:15], v[20:21], -v[16:17]
	v_add_f64 v[22:23], v[22:23], -v[14:15]
	s_andn2_saveexec_b64 s[4:5], s[26:27]
	s_cbranch_execz .LBB5_18
	s_branch .LBB5_17
.LBB5_14:
	s_and_b64 vcc, exec, s[6:7]
	s_cbranch_vccz .LBB5_92
; %bb.15:
	s_mov_b32 s12, s8
	v_mov_b32_e32 v31, v0
	v_mov_b32_e32 v0, s16
	;; [unrolled: 1-line block ×6, first 2 shown]
	s_getpc_b64 s[4:5]
	s_add_u32 s4, s4, _ZN2at6native25elementwise_kernel_helperILb0EZZZNS0_12_GLOBAL__N_119airy_ai_kernel_cudaERNS_18TensorIteratorBaseEENKUlvE_clEvENKUlvE_clEvEUldE_NS0_6memory8policies11unroll_baseILi256ESt5arrayIPcLm2EE23TrivialOffsetCalculatorILi1EjESF_NS8_15LoadWithoutCastENS8_16StoreWithoutCastELi4ELi1EEEEEvT0_T1_@rel32@lo+4
	s_addc_u32 s5, s5, _ZN2at6native25elementwise_kernel_helperILb0EZZZNS0_12_GLOBAL__N_119airy_ai_kernel_cudaERNS_18TensorIteratorBaseEENKUlvE_clEvENKUlvE_clEvEUldE_NS0_6memory8policies11unroll_baseILi256ESt5arrayIPcLm2EE23TrivialOffsetCalculatorILi1EjESF_NS8_15LoadWithoutCastENS8_16StoreWithoutCastELi4ELi1EEEEEvT0_T1_@rel32@hi+12
	s_swappc_b64 s[30:31], s[4:5]
	s_endpgm
.LBB5_16:
	s_andn2_saveexec_b64 s[4:5], s[26:27]
	s_cbranch_execz .LBB5_18
.LBB5_17:
	s_mov_b32 s24, 0x6dc9c883
	s_mov_b32 s25, 0x3fe45f30
	v_mul_f64 v[14:15], |v[10:11]|, s[24:25]
	s_mov_b32 s24, 0x54442d18
	v_rndne_f64_e32 v[14:15], v[14:15]
	s_mov_b32 s25, 0xbff921fb
	v_fma_f64 v[16:17], v[14:15], s[24:25], |v[10:11]|
	s_mov_b32 s25, 0xbc91a626
	s_mov_b32 s24, 0x33145c00
	v_mul_f64 v[20:21], v[14:15], s[24:25]
	v_add_f64 v[32:33], v[16:17], v[20:21]
	v_fma_f64 v[22:23], s[24:25], v[14:15], v[16:17]
	s_mov_b32 s25, 0x3c91a626
	v_add_f64 v[16:17], v[16:17], -v[32:33]
	v_fma_f64 v[30:31], s[24:25], v[14:15], v[20:21]
	v_add_f64 v[16:17], v[16:17], v[20:21]
	v_add_f64 v[20:21], v[32:33], -v[22:23]
	v_add_f64 v[16:17], v[20:21], v[16:17]
	s_mov_b32 s24, 0x252049c0
	v_add_f64 v[16:17], v[16:17], -v[30:31]
	s_mov_b32 s25, 0xb97b839a
	v_fmac_f64_e32 v[16:17], s[24:25], v[14:15]
	v_add_f64 v[20:21], v[22:23], v[16:17]
	v_add_f64 v[22:23], v[20:21], -v[22:23]
	v_add_f64 v[22:23], v[16:17], -v[22:23]
	v_cvt_i32_f64_e32 v31, v[14:15]
.LBB5_18:
	s_or_b64 exec, exec, s[4:5]
                                        ; implicit-def: $vgpr30
                                        ; implicit-def: $vgpr14_vgpr15
                                        ; implicit-def: $vgpr16_vgpr17
	s_and_saveexec_b64 s[4:5], s[22:23]
	s_xor_b64 s[22:23], exec, s[4:5]
	s_cbranch_execz .LBB5_20
; %bb.19:
	s_mov_b32 s4, 0
	s_mov_b32 s5, 0x7b000000
	s_movk_i32 s24, 0xff80
	v_and_b32_e32 v16, 0x7fffffff, v11
	v_ldexp_f64 v[14:15], |v[10:11]|, s24
	v_cmp_ge_f64_e64 vcc, |v[10:11]|, s[4:5]
	v_cndmask_b32_e32 v15, v16, v15, vcc
	v_cndmask_b32_e32 v14, v10, v14, vcc
	v_mul_f64 v[32:33], v[28:29], v[14:15]
	v_mul_f64 v[16:17], v[26:27], v[14:15]
	v_fma_f64 v[28:29], v[28:29], v[14:15], -v[32:33]
	v_add_f64 v[34:35], v[16:17], v[28:29]
	v_add_f64 v[36:37], v[32:33], v[34:35]
	s_mov_b32 s4, 0
	v_ldexp_f64 v[38:39], v[36:37], -2
	s_mov_b32 s5, 0x7ff00000
	v_fract_f64_e32 v[40:41], v[38:39]
	v_cmp_neq_f64_e64 vcc, |v[38:39]|, s[4:5]
	v_cndmask_b32_e32 v39, 0, v41, vcc
	v_cndmask_b32_e32 v38, 0, v40, vcc
	v_add_f64 v[40:41], v[34:35], -v[16:17]
	v_add_f64 v[28:29], v[28:29], -v[40:41]
	;; [unrolled: 1-line block ×4, first 2 shown]
	v_fma_f64 v[16:17], v[26:27], v[14:15], -v[16:17]
	v_mul_f64 v[26:27], v[24:25], v[14:15]
	v_add_f64 v[28:29], v[28:29], v[40:41]
	v_add_f64 v[40:41], v[26:27], v[16:17]
	;; [unrolled: 1-line block ×3, first 2 shown]
	v_add_f64 v[32:33], v[36:37], -v[32:33]
	v_add_f64 v[36:37], v[44:45], -v[40:41]
	;; [unrolled: 1-line block ×5, first 2 shown]
	v_add_f64 v[28:29], v[28:29], v[36:37]
	v_add_f64 v[36:37], v[40:41], -v[26:27]
	v_add_f64 v[16:17], v[16:17], -v[36:37]
	;; [unrolled: 1-line block ×4, first 2 shown]
	v_add_f64 v[16:17], v[16:17], v[36:37]
	v_add_f64 v[32:33], v[34:35], -v[32:33]
	v_add_f64 v[16:17], v[16:17], v[28:29]
	v_fma_f64 v[14:15], v[24:25], v[14:15], -v[26:27]
	v_add_f64 v[34:35], v[32:33], v[44:45]
	v_add_f64 v[14:15], v[14:15], v[16:17]
	v_ldexp_f64 v[16:17], v[38:39], 2
	v_add_f64 v[24:25], v[34:35], v[16:17]
	v_mov_b32_e32 v26, 0x40100000
	v_cmp_gt_f64_e32 vcc, 0, v[24:25]
	v_mov_b32_e32 v42, 0
	v_cndmask_b32_e32 v43, 0, v26, vcc
	v_add_f64 v[16:17], v[16:17], v[42:43]
	v_add_f64 v[24:25], v[34:35], v[16:17]
	v_cvt_i32_f64_e32 v26, v[24:25]
	v_cvt_f64_i32_e32 v[24:25], v26
	v_add_f64 v[16:17], v[16:17], -v[24:25]
	v_add_f64 v[32:33], v[34:35], -v[32:33]
	v_add_f64 v[24:25], v[34:35], v[16:17]
	v_add_f64 v[32:33], v[44:45], -v[32:33]
	v_add_f64 v[16:17], v[24:25], -v[16:17]
	v_add_f64 v[14:15], v[32:33], v[14:15]
	v_add_f64 v[16:17], v[34:35], -v[16:17]
	v_add_f64 v[14:15], v[14:15], v[16:17]
	v_cmp_le_f64_e32 vcc, 0.5, v[24:25]
	v_mov_b32_e32 v16, 0x3ff00000
	v_cndmask_b32_e32 v43, 0, v16, vcc
	v_addc_co_u32_e64 v30, s[4:5], 0, v26, vcc
	v_add_f64 v[16:17], v[24:25], -v[42:43]
	v_add_f64 v[24:25], v[16:17], v[14:15]
	s_mov_b32 s4, 0x54442d18
	v_add_f64 v[16:17], v[24:25], -v[16:17]
	s_mov_b32 s5, 0x3ff921fb
	v_add_f64 v[14:15], v[14:15], -v[16:17]
	v_mul_f64 v[16:17], v[24:25], s[4:5]
	s_mov_b32 s24, 0x33145c07
	v_fma_f64 v[26:27], v[24:25], s[4:5], -v[16:17]
	s_mov_b32 s25, 0x3c91a626
	v_fmac_f64_e32 v[26:27], s[24:25], v[24:25]
	v_fmac_f64_e32 v[26:27], s[4:5], v[14:15]
	v_add_f64 v[14:15], v[16:17], v[26:27]
	v_add_f64 v[16:17], v[14:15], -v[16:17]
	v_add_f64 v[16:17], v[26:27], -v[16:17]
	s_andn2_saveexec_b64 s[4:5], s[22:23]
	s_cbranch_execnz .LBB5_21
	s_branch .LBB5_22
.LBB5_20:
	s_andn2_saveexec_b64 s[4:5], s[22:23]
	s_cbranch_execz .LBB5_22
.LBB5_21:
	s_mov_b32 s22, 0x6dc9c883
	s_mov_b32 s23, 0x3fe45f30
	v_mul_f64 v[14:15], |v[10:11]|, s[22:23]
	s_mov_b32 s22, 0x54442d18
	v_rndne_f64_e32 v[24:25], v[14:15]
	s_mov_b32 s23, 0xbff921fb
	v_fma_f64 v[14:15], v[24:25], s[22:23], |v[10:11]|
	s_mov_b32 s23, 0xbc91a626
	s_mov_b32 s22, 0x33145c00
	v_mul_f64 v[26:27], v[24:25], s[22:23]
	v_add_f64 v[32:33], v[14:15], v[26:27]
	v_fma_f64 v[16:17], s[22:23], v[24:25], v[14:15]
	s_mov_b32 s23, 0x3c91a626
	v_add_f64 v[14:15], v[14:15], -v[32:33]
	v_fma_f64 v[28:29], s[22:23], v[24:25], v[26:27]
	v_add_f64 v[14:15], v[14:15], v[26:27]
	v_add_f64 v[26:27], v[32:33], -v[16:17]
	v_add_f64 v[14:15], v[26:27], v[14:15]
	s_mov_b32 s22, 0x252049c0
	v_add_f64 v[26:27], v[14:15], -v[28:29]
	s_mov_b32 s23, 0xb97b839a
	v_fmac_f64_e32 v[26:27], s[22:23], v[24:25]
	v_add_f64 v[14:15], v[16:17], v[26:27]
	v_add_f64 v[16:17], v[14:15], -v[16:17]
	v_add_f64 v[16:17], v[26:27], -v[16:17]
	v_cvt_i32_f64_e32 v30, v[24:25]
.LBB5_22:
	s_or_b64 exec, exec, s[4:5]
	v_div_scale_f64 v[24:25], s[4:5], v[18:19], v[18:19], 1.0
	v_rcp_f64_e32 v[26:27], v[24:25]
	v_div_scale_f64 v[28:29], vcc, 1.0, v[18:19], 1.0
	v_mov_b32_e32 v34, 0xb99518a7
	v_fma_f64 v[32:33], -v[24:25], v[26:27], 1.0
	v_fmac_f64_e32 v[26:27], v[26:27], v[32:33]
	v_fma_f64 v[32:33], -v[24:25], v[26:27], 1.0
	v_fmac_f64_e32 v[26:27], v[26:27], v[32:33]
	v_mul_f64 v[32:33], v[28:29], v[26:27]
	v_fma_f64 v[24:25], -v[24:25], v[32:33], v[28:29]
	v_div_fmas_f64 v[24:25], v[24:25], v[26:27], v[32:33]
	v_div_fixup_f64 v[18:19], v[24:25], v[18:19], 1.0
	v_mul_f64 v[24:25], v[18:19], v[18:19]
	v_mov_b32_e32 v26, 0xd50ae6fb
	v_mov_b32_e32 v27, 0xbfc0db6c
	v_fmac_f64_e32 v[26:27], 0, v[24:25]
	v_mov_b32_e32 v28, 0x98566852
	v_mov_b32_e32 v29, 0xbfe40bee
	v_fmac_f64_e32 v[28:29], v[24:25], v[26:27]
	;; [unrolled: 3-line block ×16, first 2 shown]
	v_mov_b32_e32 v35, 0x3e9e52b9
	v_mul_f64 v[36:37], v[20:21], v[20:21]
	v_fmac_f64_e32 v[34:35], v[24:25], v[32:33]
	v_mov_b32_e32 v32, 0xf68ea2d2
	v_mov_b32_e32 v33, 0xbe52041c
	v_mul_f64 v[26:27], v[36:37], 0.5
	v_fmac_f64_e32 v[32:33], v[24:25], v[28:29]
	v_add_f64 v[28:29], -v[26:27], 1.0
	s_mov_b32 s4, 0x9037ab78
	v_add_f64 v[38:39], -v[28:29], 1.0
	s_mov_b32 s5, 0x3e21eeb6
	s_mov_b32 s22, 0x46cc5e42
	v_add_f64 v[38:39], v[38:39], -v[26:27]
	s_mov_b32 s23, 0xbda907db
	v_pk_mov_b32 v[26:27], s[4:5], s[4:5] op_sel:[0,1]
	s_mov_b32 s24, 0xa17f65f6
	v_fma_f64 v[42:43], s[22:23], v[36:37], v[26:27]
	s_mov_b32 s25, 0xbe927e4f
	s_mov_b32 s26, 0x19f4ec90
	v_fma_f64 v[42:43], v[36:37], v[42:43], s[24:25]
	s_mov_b32 s27, 0x3efa01a0
	s_mov_b32 s28, 0x16c16967
	v_fma_f64 v[42:43], v[36:37], v[42:43], s[26:27]
	s_mov_b32 s29, 0xbf56c16c
	s_mov_b32 s30, 0x55555555
	v_fma_f64 v[42:43], v[36:37], v[42:43], s[28:29]
	s_mov_b32 s31, 0x3fa55555
	v_mul_f64 v[40:41], v[36:37], v[36:37]
	v_fma_f64 v[42:43], v[36:37], v[42:43], s[30:31]
	v_fma_f64 v[38:39], v[20:21], -v[22:23], v[38:39]
	s_mov_b32 s4, 0xb42fdfa7
	v_fmac_f64_e32 v[38:39], v[40:41], v[42:43]
	s_mov_b32 s5, 0xbe5ae600
	s_mov_b32 s34, 0xf9a43bb8
	v_add_f64 v[38:39], v[28:29], v[38:39]
	s_mov_b32 s35, 0x3de5e0b2
	v_pk_mov_b32 v[28:29], s[4:5], s[4:5] op_sel:[0,1]
	s_mov_b32 s36, 0x796cde01
	v_fma_f64 v[40:41], s[34:35], v[36:37], v[28:29]
	s_mov_b32 s37, 0x3ec71de3
	s_mov_b32 s38, 0x19e83e5c
	v_fma_f64 v[40:41], v[36:37], v[40:41], s[36:37]
	s_mov_b32 s39, 0xbf2a01a0
	;; [unrolled: 3-line block ×3, first 2 shown]
	v_fma_f64 v[40:41], v[36:37], v[40:41], s[40:41]
	v_mul_f64 v[42:43], v[20:21], -v[36:37]
	v_mul_f64 v[44:45], v[22:23], 0.5
	v_fmac_f64_e32 v[44:45], v[42:43], v[40:41]
	v_fma_f64 v[22:23], v[36:37], v[44:45], -v[22:23]
	s_mov_b32 s43, 0xbfc55555
	s_mov_b32 s42, s30
	v_fmac_f64_e32 v[22:23], s[42:43], v[42:43]
	v_add_f64 v[20:21], v[20:21], -v[22:23]
	v_and_b32_e32 v22, 1, v31
	v_cmp_eq_u32_e32 vcc, 0, v22
	v_cndmask_b32_e32 v36, v38, v20, vcc
	v_cndmask_b32_e32 v20, v39, v21, vcc
	v_lshlrev_b32_e32 v21, 30, v31
	v_xor_b32_e32 v21, v21, v11
	v_and_b32_e32 v21, 0x80000000, v21
	v_xor_b32_e32 v31, v20, v21
	v_mul_f64 v[20:21], v[24:25], v[32:33]
	v_div_scale_f64 v[22:23], s[4:5], v[34:35], v[34:35], v[20:21]
	v_rcp_f64_e32 v[32:33], v[22:23]
	s_movk_i32 s33, 0x1f8
	v_cmp_class_f64_e64 s[4:5], v[10:11], s33
	v_cndmask_b32_e64 v10, 0, v36, s[4:5]
	v_fma_f64 v[36:37], -v[22:23], v[32:33], 1.0
	v_fmac_f64_e32 v[32:33], v[32:33], v[36:37]
	v_fma_f64 v[36:37], -v[22:23], v[32:33], 1.0
	v_fmac_f64_e32 v[32:33], v[32:33], v[36:37]
	v_div_scale_f64 v[36:37], vcc, v[20:21], v[34:35], v[20:21]
	v_mul_f64 v[38:39], v[36:37], v[32:33]
	v_fma_f64 v[22:23], -v[22:23], v[38:39], v[36:37]
	s_mov_b32 s44, 0
	s_nop 0
	v_div_fmas_f64 v[22:23], v[22:23], v[32:33], v[38:39]
	v_div_fixup_f64 v[20:21], v[22:23], v[34:35], v[20:21]
	v_mov_b32_e32 v22, 0xddcfbbde
	v_mov_b32_e32 v23, 0x3f943525
	v_fmac_f64_e32 v[22:23], 0, v[24:25]
	v_mov_b32_e32 v32, 0x6437b7
	v_mov_b32_e32 v33, 0x3fd907d5
	v_fmac_f64_e32 v[32:33], v[24:25], v[22:23]
	;; [unrolled: 3-line block ×14, first 2 shown]
	v_mov_b32_e32 v34, 0x2b79dbce
	v_mov_b32_e32 v35, 0x4015e84e
	s_brev_b32 s45, 8
	v_mov_b32_e32 v42, 0x7ff80000
	v_fmac_f64_e32 v[34:35], v[24:25], v[32:33]
	v_mov_b32_e32 v32, 0xc195ece3
	v_mov_b32_e32 v33, 0x3fee8992
	v_cmp_gt_f64_e32 vcc, s[44:45], v[2:3]
	v_cndmask_b32_e64 v11, v42, v31, s[4:5]
	v_fmac_f64_e32 v[32:33], v[24:25], v[34:35]
	v_mov_b32_e32 v34, 0xed64a9ee
	v_mov_b32_e32 v35, 0x3fb6221d
	v_cndmask_b32_e64 v31, 0, 1, vcc
	v_fmac_f64_e32 v[34:35], v[24:25], v[32:33]
	v_mov_b32_e32 v32, 0x6be393bb
	v_mov_b32_e32 v33, 0x3f70e704
	v_lshlrev_b32_e32 v31, 8, v31
	v_fmac_f64_e32 v[32:33], v[24:25], v[34:35]
	v_mov_b32_e32 v34, 0xd603a5a0
	v_mov_b32_e32 v35, 0x3f1a8b61
	v_ldexp_f64 v[2:3], v[2:3], v31
	v_fmac_f64_e32 v[34:35], v[24:25], v[32:33]
	v_rsq_f64_e32 v[32:33], v[2:3]
	v_mov_b32_e32 v36, 0xdb0724e8
	v_mov_b32_e32 v37, 0x3eb3a845
	v_fmac_f64_e32 v[36:37], v[24:25], v[34:35]
	v_mul_f64 v[34:35], v[2:3], v[32:33]
	v_mul_f64 v[32:33], v[32:33], 0.5
	v_fma_f64 v[38:39], -v[32:33], v[34:35], 0.5
	v_fmac_f64_e32 v[34:35], v[34:35], v[38:39]
	v_fma_f64 v[40:41], -v[34:35], v[34:35], v[2:3]
	v_fmac_f64_e32 v[32:33], v[32:33], v[38:39]
	v_fmac_f64_e32 v[34:35], v[40:41], v[32:33]
	v_fma_f64 v[38:39], -v[34:35], v[34:35], v[2:3]
	v_mov_b32_e32 v31, 0xffffff80
	v_fmac_f64_e32 v[34:35], v[38:39], v[32:33]
	v_cndmask_b32_e32 v31, 0, v31, vcc
	v_ldexp_f64 v[32:33], v[34:35], v31
	v_mov_b32_e32 v31, 0x260
	v_cmp_class_f64_e32 vcc, v[2:3], v31
	s_mov_b32 s44, 0x50429b6d
	v_cndmask_b32_e32 v3, v33, v3, vcc
	v_cndmask_b32_e32 v2, v32, v2, vcc
	s_mov_b32 s45, 0x3fe20dd7
	v_div_scale_f64 v[32:33], s[46:47], v[2:3], v[2:3], s[44:45]
	v_rcp_f64_e32 v[34:35], v[32:33]
	v_mov_b32_e32 v38, 0x3dd589d4
	v_mov_b32_e32 v39, 0x3e351fc7
	v_fmac_f64_e32 v[38:39], v[24:25], v[36:37]
	v_fma_f64 v[24:25], -v[32:33], v[34:35], 1.0
	v_fmac_f64_e32 v[34:35], v[34:35], v[24:25]
	v_fma_f64 v[24:25], -v[32:33], v[34:35], 1.0
	v_fmac_f64_e32 v[34:35], v[34:35], v[24:25]
	v_div_scale_f64 v[24:25], vcc, s[44:45], v[2:3], s[44:45]
	v_mul_f64 v[36:37], v[24:25], v[34:35]
	v_fma_f64 v[24:25], -v[32:33], v[36:37], v[24:25]
	v_add_f64 v[20:21], v[20:21], 1.0
	s_nop 0
	v_div_fmas_f64 v[24:25], v[24:25], v[34:35], v[36:37]
	v_div_fixup_f64 v[2:3], v[24:25], v[2:3], s[44:45]
	v_mul_f64 v[24:25], v[14:15], v[14:15]
	v_mul_f64 v[32:33], v[24:25], 0.5
	v_fmac_f64_e32 v[26:27], s[22:23], v[24:25]
	v_add_f64 v[34:35], -v[32:33], 1.0
	v_fma_f64 v[26:27], v[24:25], v[26:27], s[24:25]
	v_add_f64 v[36:37], -v[34:35], 1.0
	v_fma_f64 v[26:27], v[24:25], v[26:27], s[26:27]
	v_add_f64 v[32:33], v[36:37], -v[32:33]
	v_fma_f64 v[26:27], v[24:25], v[26:27], s[28:29]
	v_fmac_f64_e32 v[28:29], s[34:35], v[24:25]
	v_mul_f64 v[36:37], v[24:25], v[24:25]
	v_fma_f64 v[26:27], v[24:25], v[26:27], s[30:31]
	v_fma_f64 v[32:33], v[14:15], -v[16:17], v[32:33]
	v_fma_f64 v[28:29], v[24:25], v[28:29], s[36:37]
	v_fmac_f64_e32 v[32:33], v[36:37], v[26:27]
	v_fma_f64 v[28:29], v[24:25], v[28:29], s[38:39]
	v_add_f64 v[26:27], v[34:35], v[32:33]
	v_fma_f64 v[28:29], v[24:25], v[28:29], s[40:41]
	v_mul_f64 v[32:33], v[14:15], -v[24:25]
	v_mul_f64 v[34:35], v[16:17], 0.5
	v_fmac_f64_e32 v[34:35], v[32:33], v[28:29]
	v_fma_f64 v[16:17], v[24:25], v[34:35], -v[16:17]
	v_fmac_f64_e32 v[16:17], s[42:43], v[32:33]
	v_add_f64 v[14:15], v[14:15], -v[16:17]
	v_and_b32_e32 v16, 1, v30
	v_cmp_eq_u32_e32 vcc, 0, v16
	v_xor_b32_e32 v15, 0x80000000, v15
	v_cndmask_b32_e32 v24, v14, v26, vcc
	v_lshlrev_b32_e32 v14, 30, v30
	v_cndmask_b32_e32 v25, v15, v27, vcc
	v_and_b32_e32 v26, 0x80000000, v14
	v_mul_f64 v[14:15], v[18:19], v[22:23]
	v_div_scale_f64 v[16:17], s[22:23], v[38:39], v[38:39], v[14:15]
	v_rcp_f64_e32 v[18:19], v[16:17]
	v_xor_b32_e32 v23, v25, v26
	v_cndmask_b32_e64 v22, 0, v24, s[4:5]
	v_cndmask_b32_e64 v23, v42, v23, s[4:5]
	v_fma_f64 v[24:25], -v[16:17], v[18:19], 1.0
	v_fmac_f64_e32 v[18:19], v[18:19], v[24:25]
	v_fma_f64 v[24:25], -v[16:17], v[18:19], 1.0
	v_fmac_f64_e32 v[18:19], v[18:19], v[24:25]
	v_div_scale_f64 v[24:25], vcc, v[14:15], v[38:39], v[14:15]
	v_mul_f64 v[26:27], v[24:25], v[18:19]
	v_fma_f64 v[16:17], -v[16:17], v[26:27], v[24:25]
	s_nop 1
	v_div_fmas_f64 v[16:17], v[16:17], v[18:19], v[26:27]
	v_div_fixup_f64 v[14:15], v[16:17], v[38:39], v[14:15]
	v_mul_f64 v[14:15], v[14:15], v[22:23]
	v_fma_f64 v[10:11], v[20:21], v[10:11], -v[14:15]
	v_mul_f64 v[2:3], v[2:3], v[10:11]
.LBB5_23:
	s_or_b64 exec, exec, s[20:21]
.LBB5_24:
	s_or_b64 exec, exec, s[14:15]
.LBB5_25:
	s_or_b64 exec, exec, s[12:13]
	v_cmp_neq_f64_e64 s[4:5], |v[12:13]|, s[10:11]
	s_and_saveexec_b64 s[10:11], s[4:5]
	s_cbranch_execz .LBB5_47
; %bb.26:
	s_mov_b32 s4, 0x872b020c
	s_mov_b32 s5, 0x4059f916
	v_cmp_nlt_f64_e32 vcc, s[4:5], v[12:13]
	v_pk_mov_b32 v[4:5], 0, 0
	s_and_saveexec_b64 s[12:13], vcc
	s_cbranch_execz .LBB5_46
; %bb.27:
	s_mov_b32 s5, 0xc000b851
	s_mov_b32 s4, 0xeb851eb8
	v_cmp_ngt_f64_e32 vcc, s[4:5], v[12:13]
	s_and_saveexec_b64 s[14:15], vcc
	s_xor_b64 s[14:15], exec, s[14:15]
	s_cbranch_execz .LBB5_35
; %bb.28:
	s_mov_b32 s5, 0x4000b851
	v_cmp_nle_f64_e64 s[20:21], s[4:5], v[12:13]
	v_cmp_le_f64_e32 vcc, s[4:5], v[12:13]
	v_pk_mov_b32 v[4:5], 0, 0
	s_mov_b64 s[4:5], s[20:21]
	s_and_saveexec_b64 s[22:23], vcc
	s_cbranch_execz .LBB5_30
; %bb.29:
	s_mov_b32 s4, 0
	s_brev_b32 s5, 8
	v_cmp_gt_f64_e32 vcc, s[4:5], v[12:13]
	v_cndmask_b32_e64 v4, 0, 1, vcc
	v_lshlrev_b32_e32 v4, 8, v4
	v_ldexp_f64 v[4:5], v[12:13], v4
	v_rsq_f64_e32 v[10:11], v[4:5]
	v_mov_b32_e32 v26, 0xffffff80
	v_mov_b32_e32 v27, 0x260
	v_add_f64 v[14:15], v[12:13], v[12:13]
	v_mul_f64 v[16:17], v[4:5], v[10:11]
	v_mul_f64 v[10:11], v[10:11], 0.5
	v_fma_f64 v[18:19], -v[10:11], v[16:17], 0.5
	v_fmac_f64_e32 v[16:17], v[16:17], v[18:19]
	v_fma_f64 v[20:21], -v[16:17], v[16:17], v[4:5]
	v_fmac_f64_e32 v[10:11], v[10:11], v[18:19]
	v_fmac_f64_e32 v[16:17], v[20:21], v[10:11]
	v_fma_f64 v[18:19], -v[16:17], v[16:17], v[4:5]
	v_fmac_f64_e32 v[16:17], v[18:19], v[10:11]
	v_cndmask_b32_e32 v10, 0, v26, vcc
	v_ldexp_f64 v[10:11], v[16:17], v10
	v_cmp_class_f64_e32 vcc, v[4:5], v27
	v_cndmask_b32_e32 v5, v11, v5, vcc
	v_cndmask_b32_e32 v4, v10, v4, vcc
	s_mov_b32 s24, 0
	v_mul_f64 v[10:11], v[14:15], v[4:5]
	s_mov_b32 s25, 0x40080000
	v_div_scale_f64 v[14:15], s[26:27], s[24:25], s[24:25], v[10:11]
	v_rcp_f64_e32 v[16:17], v[14:15]
	v_fma_f64 v[18:19], -v[14:15], v[16:17], 1.0
	v_fmac_f64_e32 v[16:17], v[16:17], v[18:19]
	v_fma_f64 v[18:19], -v[14:15], v[16:17], 1.0
	v_fmac_f64_e32 v[16:17], v[16:17], v[18:19]
	v_div_scale_f64 v[18:19], vcc, v[10:11], s[24:25], v[10:11]
	v_mul_f64 v[20:21], v[18:19], v[16:17]
	v_fma_f64 v[14:15], -v[14:15], v[20:21], v[18:19]
	s_nop 1
	v_div_fmas_f64 v[14:15], v[14:15], v[16:17], v[20:21]
	v_div_fixup_f64 v[10:11], v[14:15], s[24:25], v[10:11]
	v_div_scale_f64 v[14:15], s[24:25], v[10:11], v[10:11], 1.0
	v_rcp_f64_e32 v[16:17], v[14:15]
	v_fma_f64 v[18:19], -v[14:15], v[16:17], 1.0
	v_fmac_f64_e32 v[16:17], v[16:17], v[18:19]
	v_fma_f64 v[18:19], -v[14:15], v[16:17], 1.0
	v_fmac_f64_e32 v[16:17], v[16:17], v[18:19]
	v_div_scale_f64 v[18:19], vcc, 1.0, v[10:11], 1.0
	v_mul_f64 v[20:21], v[18:19], v[16:17]
	v_fma_f64 v[14:15], -v[14:15], v[20:21], v[18:19]
	v_mov_b32_e32 v18, 0x871a9067
	s_nop 0
	v_div_fmas_f64 v[14:15], v[14:15], v[16:17], v[20:21]
	v_div_fixup_f64 v[14:15], v[14:15], v[10:11], 1.0
	v_mov_b32_e32 v16, 0x2537b658
	v_mov_b32_e32 v17, 0x3fd62dae
	v_fmac_f64_e32 v[16:17], 0, v[14:15]
	v_mov_b32_e32 v19, 0x402803e3
	v_fmac_f64_e32 v[18:19], v[14:15], v[16:17]
	v_mov_b32_e32 v16, 0xde2e1e3
	v_mov_b32_e32 v17, 0x405311e5
	v_fmac_f64_e32 v[16:17], v[14:15], v[18:19]
	v_mov_b32_e32 v18, 0xee40073c
	;; [unrolled: 3-line block ×12, first 2 shown]
	v_mov_b32_e32 v19, 0x402c311b
	v_fmac_f64_e32 v[18:19], v[14:15], v[20:21]
	v_fma_f64 v[18:19], v[14:15], v[18:19], 1.0
	v_fma_f64 v[14:15], v[14:15], v[16:17], 1.0
	v_div_scale_f64 v[16:17], s[24:25], v[18:19], v[18:19], v[14:15]
	v_rcp_f64_e32 v[20:21], v[16:17]
	v_fma_f64 v[22:23], -v[16:17], v[20:21], 1.0
	v_fmac_f64_e32 v[20:21], v[20:21], v[22:23]
	v_fma_f64 v[22:23], -v[16:17], v[20:21], 1.0
	v_fmac_f64_e32 v[20:21], v[20:21], v[22:23]
	v_div_scale_f64 v[22:23], vcc, v[14:15], v[18:19], v[14:15]
	v_mul_f64 v[24:25], v[22:23], v[20:21]
	v_fma_f64 v[16:17], -v[16:17], v[24:25], v[22:23]
	s_nop 1
	v_div_fmas_f64 v[16:17], v[16:17], v[20:21], v[24:25]
	v_cmp_gt_f64_e32 vcc, s[4:5], v[4:5]
	v_div_fixup_f64 v[14:15], v[16:17], v[18:19], v[14:15]
	v_cndmask_b32_e64 v16, 0, 1, vcc
	v_lshlrev_b32_e32 v16, 8, v16
	v_ldexp_f64 v[4:5], v[4:5], v16
	v_rsq_f64_e32 v[16:17], v[4:5]
	s_mov_b32 s4, 0x50429b6d
	s_mov_b32 s5, 0x3fe20dd7
	v_mul_f64 v[14:15], v[14:15], s[4:5]
	v_mul_f64 v[18:19], v[4:5], v[16:17]
	v_mul_f64 v[16:17], v[16:17], 0.5
	v_fma_f64 v[20:21], -v[16:17], v[18:19], 0.5
	v_fmac_f64_e32 v[18:19], v[18:19], v[20:21]
	v_fma_f64 v[22:23], -v[18:19], v[18:19], v[4:5]
	v_fmac_f64_e32 v[16:17], v[16:17], v[20:21]
	v_fmac_f64_e32 v[18:19], v[22:23], v[16:17]
	v_fma_f64 v[20:21], -v[18:19], v[18:19], v[4:5]
	v_fmac_f64_e32 v[18:19], v[20:21], v[16:17]
	v_cndmask_b32_e32 v16, 0, v26, vcc
	s_mov_b32 s4, 0x652b82fe
	v_ldexp_f64 v[16:17], v[18:19], v16
	v_cmp_class_f64_e32 vcc, v[4:5], v27
	s_mov_b32 s5, 0x3ff71547
	v_cndmask_b32_e32 v5, v17, v5, vcc
	v_cndmask_b32_e32 v4, v16, v4, vcc
	v_mul_f64 v[16:17], v[10:11], s[4:5]
	s_mov_b32 s4, 0xfefa39ef
	v_rndne_f64_e32 v[16:17], v[16:17]
	s_mov_b32 s5, 0xbfe62e42
	v_fma_f64 v[18:19], s[4:5], v[16:17], v[10:11]
	s_mov_b32 s4, 0x3b39803f
	s_mov_b32 s5, 0xbc7abc9e
	v_fmac_f64_e32 v[18:19], s[4:5], v[16:17]
	s_mov_b32 s4, 0x6a5dcb37
	v_mov_b32_e32 v20, 0xfca7ab0c
	v_mov_b32_e32 v21, 0x3e928af3
	s_mov_b32 s5, 0x3e5ade15
	v_fmac_f64_e32 v[20:21], s[4:5], v[18:19]
	v_mov_b32_e32 v22, 0x623fde64
	v_mov_b32_e32 v23, 0x3ec71dee
	v_fmac_f64_e32 v[22:23], v[18:19], v[20:21]
	v_mov_b32_e32 v20, 0x7c89e6b0
	v_mov_b32_e32 v21, 0x3efa0199
	;; [unrolled: 3-line block ×8, first 2 shown]
	s_mov_b32 s4, 0
	v_fmac_f64_e32 v[20:21], v[18:19], v[22:23]
	s_mov_b32 s5, 0x40900000
	v_fma_f64 v[20:21], v[18:19], v[20:21], 1.0
	v_cmp_nlt_f64_e32 vcc, s[4:5], v[10:11]
	s_mov_b32 s4, 0
	v_fma_f64 v[18:19], v[18:19], v[20:21], 1.0
	v_cvt_i32_f64_e32 v16, v[16:17]
	s_mov_b32 s5, 0xc090cc00
	v_ldexp_f64 v[16:17], v[18:19], v16
	v_mov_b32_e32 v18, 0x7ff00000
	v_cmp_ngt_f64_e64 s[4:5], s[4:5], v[10:11]
	v_cndmask_b32_e32 v17, v18, v17, vcc
	s_and_b64 vcc, s[4:5], vcc
	v_add_f64 v[4:5], v[4:5], v[4:5]
	v_cndmask_b32_e64 v11, 0, v17, s[4:5]
	v_cndmask_b32_e32 v10, 0, v16, vcc
	v_mul_f64 v[4:5], v[4:5], v[10:11]
	v_div_scale_f64 v[10:11], s[4:5], v[4:5], v[4:5], v[14:15]
	v_rcp_f64_e32 v[16:17], v[10:11]
	s_mov_b32 s4, 0xfd0a823a
	s_mov_b32 s5, 0x4020a402
	v_fma_f64 v[18:19], -v[10:11], v[16:17], 1.0
	v_fmac_f64_e32 v[16:17], v[16:17], v[18:19]
	v_fma_f64 v[18:19], -v[10:11], v[16:17], 1.0
	v_fmac_f64_e32 v[16:17], v[16:17], v[18:19]
	v_div_scale_f64 v[18:19], vcc, v[14:15], v[4:5], v[14:15]
	v_mul_f64 v[20:21], v[18:19], v[16:17]
	v_fma_f64 v[10:11], -v[10:11], v[20:21], v[18:19]
	s_nop 1
	v_div_fmas_f64 v[10:11], v[10:11], v[16:17], v[20:21]
	v_cmp_nlt_f64_e32 vcc, s[4:5], v[12:13]
	s_andn2_b64 s[4:5], s[20:21], exec
	s_and_b64 s[24:25], vcc, exec
	v_div_fixup_f64 v[4:5], v[10:11], v[4:5], v[14:15]
	s_or_b64 s[4:5], s[4:5], s[24:25]
.LBB5_30:
	s_or_b64 exec, exec, s[22:23]
	s_and_saveexec_b64 s[22:23], s[4:5]
	s_cbranch_execz .LBB5_34
; %bb.31:
	v_mov_b32_e32 v20, 0
	v_mul_f64 v[10:11], v[12:13], v[12:13]
	v_mov_b32_e32 v21, 0x3ff00000
	s_mov_b32 s26, 0
	v_mul_f64 v[14:15], v[12:13], v[10:11]
	s_mov_b64 s[24:25], 0
	s_mov_b32 s27, 0x3cb00000
	v_pk_mov_b32 v[18:19], v[20:21], v[20:21] op_sel:[0,1]
	v_pk_mov_b32 v[16:17], v[12:13], v[12:13] op_sel:[0,1]
	;; [unrolled: 1-line block ×3, first 2 shown]
.LBB5_32:                               ; =>This Inner Loop Header: Depth=1
	v_mul_f64 v[20:21], v[14:15], v[20:21]
	v_add_f64 v[22:23], v[18:19], 1.0
	v_mul_f64 v[12:13], v[14:15], v[12:13]
	v_div_scale_f64 v[24:25], s[4:5], v[22:23], v[22:23], v[20:21]
	v_add_f64 v[28:29], v[22:23], 1.0
	v_rcp_f64_e32 v[30:31], v[24:25]
	v_div_scale_f64 v[32:33], s[4:5], v[28:29], v[28:29], v[12:13]
	v_rcp_f64_e32 v[36:37], v[32:33]
	v_fma_f64 v[38:39], -v[24:25], v[30:31], 1.0
	v_fmac_f64_e32 v[30:31], v[30:31], v[38:39]
	v_fma_f64 v[40:41], -v[24:25], v[30:31], 1.0
	v_fma_f64 v[38:39], -v[32:33], v[36:37], 1.0
	v_fmac_f64_e32 v[36:37], v[36:37], v[38:39]
	v_div_scale_f64 v[26:27], vcc, v[20:21], v[22:23], v[20:21]
	v_fmac_f64_e32 v[30:31], v[30:31], v[40:41]
	v_fma_f64 v[38:39], -v[32:33], v[36:37], 1.0
	v_div_scale_f64 v[34:35], s[4:5], v[12:13], v[28:29], v[12:13]
	v_mul_f64 v[40:41], v[26:27], v[30:31]
	v_fmac_f64_e32 v[36:37], v[36:37], v[38:39]
	v_fma_f64 v[24:25], -v[24:25], v[40:41], v[26:27]
	v_mul_f64 v[26:27], v[34:35], v[36:37]
	v_div_fmas_f64 v[24:25], v[24:25], v[30:31], v[40:41]
	v_fma_f64 v[30:31], -v[32:33], v[26:27], v[34:35]
	s_mov_b64 vcc, s[4:5]
	v_div_fixup_f64 v[20:21], v[24:25], v[22:23], v[20:21]
	v_div_fmas_f64 v[22:23], v[30:31], v[36:37], v[26:27]
	v_div_fixup_f64 v[12:13], v[22:23], v[28:29], v[12:13]
	v_div_scale_f64 v[22:23], s[4:5], v[28:29], v[28:29], v[20:21]
	v_add_f64 v[18:19], v[28:29], 1.0
	v_rcp_f64_e32 v[26:27], v[22:23]
	v_div_scale_f64 v[30:31], s[4:5], v[18:19], v[18:19], v[12:13]
	v_rcp_f64_e32 v[34:35], v[30:31]
	v_fma_f64 v[36:37], -v[22:23], v[26:27], 1.0
	v_fmac_f64_e32 v[26:27], v[26:27], v[36:37]
	v_fma_f64 v[38:39], -v[22:23], v[26:27], 1.0
	v_fma_f64 v[36:37], -v[30:31], v[34:35], 1.0
	v_div_scale_f64 v[24:25], vcc, v[20:21], v[28:29], v[20:21]
	v_fmac_f64_e32 v[34:35], v[34:35], v[36:37]
	v_fmac_f64_e32 v[26:27], v[26:27], v[38:39]
	v_fma_f64 v[36:37], -v[30:31], v[34:35], 1.0
	v_mul_f64 v[38:39], v[24:25], v[26:27]
	v_div_scale_f64 v[32:33], s[4:5], v[12:13], v[18:19], v[12:13]
	v_fmac_f64_e32 v[34:35], v[34:35], v[36:37]
	v_fma_f64 v[22:23], -v[22:23], v[38:39], v[24:25]
	v_mul_f64 v[24:25], v[32:33], v[34:35]
	v_div_fmas_f64 v[22:23], v[22:23], v[26:27], v[38:39]
	v_fma_f64 v[26:27], -v[30:31], v[24:25], v[32:33]
	v_div_fixup_f64 v[20:21], v[22:23], v[28:29], v[20:21]
	s_mov_b64 vcc, s[4:5]
	v_div_fmas_f64 v[22:23], v[26:27], v[34:35], v[24:25]
	v_add_f64 v[10:11], v[10:11], v[20:21]
	v_div_fixup_f64 v[12:13], v[22:23], v[18:19], v[12:13]
	v_div_scale_f64 v[22:23], s[4:5], v[10:11], v[10:11], v[20:21]
	v_rcp_f64_e32 v[24:25], v[22:23]
	v_div_scale_f64 v[26:27], vcc, v[20:21], v[10:11], v[20:21]
	v_add_f64 v[16:17], v[16:17], v[12:13]
	v_fma_f64 v[28:29], -v[22:23], v[24:25], 1.0
	v_fmac_f64_e32 v[24:25], v[24:25], v[28:29]
	v_fma_f64 v[28:29], -v[22:23], v[24:25], 1.0
	v_fmac_f64_e32 v[24:25], v[24:25], v[28:29]
	v_mul_f64 v[28:29], v[26:27], v[24:25]
	v_fma_f64 v[22:23], -v[22:23], v[28:29], v[26:27]
	v_div_fmas_f64 v[22:23], v[22:23], v[24:25], v[28:29]
	v_div_fixup_f64 v[22:23], v[22:23], v[10:11], v[20:21]
	v_cmp_ngt_f64_e64 s[4:5], |v[22:23]|, s[26:27]
	s_or_b64 s[24:25], s[4:5], s[24:25]
	s_andn2_b64 exec, exec, s[24:25]
	s_cbranch_execnz .LBB5_32
; %bb.33:
	s_or_b64 exec, exec, s[24:25]
	s_mov_b32 s4, 0x42b70f8b
	s_mov_b32 s5, 0xbfd0907f
	v_mul_f64 v[12:13], v[16:17], s[4:5]
	s_mov_b32 s4, 0x962715b8
	s_mov_b32 s5, 0x3fd6b8c7
	v_fmac_f64_e32 v[12:13], s[4:5], v[10:11]
	v_cndmask_b32_e64 v5, v5, v13, s[20:21]
	v_cndmask_b32_e64 v4, v4, v12, s[20:21]
.LBB5_34:
	s_or_b64 exec, exec, s[22:23]
                                        ; implicit-def: $vgpr12_vgpr13
.LBB5_35:
	s_andn2_saveexec_b64 s[14:15], s[14:15]
	s_cbranch_execz .LBB5_45
; %bb.36:
	s_mov_b32 s4, 0
	s_brev_b32 s5, 9
	v_cmp_lt_f64_e32 vcc, s[4:5], v[12:13]
	v_cndmask_b32_e64 v4, 0, 1, vcc
	v_lshlrev_b32_e32 v4, 8, v4
	v_ldexp_f64 v[4:5], -v[12:13], v4
	v_rsq_f64_e32 v[10:11], v[4:5]
	v_mul_f64 v[12:13], v[12:13], -2.0
	s_mov_b32 s20, 0
	s_mov_b32 s21, 0x40080000
	v_mul_f64 v[14:15], v[4:5], v[10:11]
	v_mul_f64 v[10:11], v[10:11], 0.5
	v_fma_f64 v[16:17], -v[10:11], v[14:15], 0.5
	v_fmac_f64_e32 v[14:15], v[14:15], v[16:17]
	v_fma_f64 v[18:19], -v[14:15], v[14:15], v[4:5]
	v_fmac_f64_e32 v[10:11], v[10:11], v[16:17]
	v_fmac_f64_e32 v[14:15], v[18:19], v[10:11]
	v_fma_f64 v[16:17], -v[14:15], v[14:15], v[4:5]
	v_fmac_f64_e32 v[14:15], v[16:17], v[10:11]
	v_mov_b32_e32 v10, 0xffffff80
	v_cndmask_b32_e32 v10, 0, v10, vcc
	v_ldexp_f64 v[10:11], v[14:15], v10
	v_mov_b32_e32 v14, 0x260
	v_cmp_class_f64_e32 vcc, v[4:5], v14
	v_cndmask_b32_e32 v5, v11, v5, vcc
	v_cndmask_b32_e32 v4, v10, v4, vcc
	v_mul_f64 v[10:11], v[12:13], v[4:5]
	v_div_scale_f64 v[12:13], s[4:5], s[20:21], s[20:21], v[10:11]
	v_rcp_f64_e32 v[14:15], v[12:13]
	s_mov_b32 s23, 0x3fe921fb
	s_mov_b32 s22, 0x54442d18
	s_movk_i32 s4, 0xff80
	v_fma_f64 v[16:17], -v[12:13], v[14:15], 1.0
	v_fmac_f64_e32 v[14:15], v[14:15], v[16:17]
	v_fma_f64 v[16:17], -v[12:13], v[14:15], 1.0
	v_fmac_f64_e32 v[14:15], v[14:15], v[16:17]
	v_div_scale_f64 v[16:17], vcc, v[10:11], s[20:21], v[10:11]
	v_mul_f64 v[18:19], v[16:17], v[14:15]
	v_fma_f64 v[12:13], -v[12:13], v[18:19], v[16:17]
                                        ; implicit-def: $vgpr29
                                        ; implicit-def: $vgpr20_vgpr21
	s_nop 1
	v_div_fmas_f64 v[12:13], v[12:13], v[14:15], v[18:19]
	v_div_fixup_f64 v[16:17], v[12:13], s[20:21], v[10:11]
	s_mov_b32 s20, 0
	v_add_f64 v[10:11], v[16:17], s[22:23]
	s_mov_b32 s21, 0x41d00000
	v_cmp_nlt_f64_e64 s[20:21], |v[10:11]|, s[20:21]
	v_trig_preop_f64 v[26:27], |v[10:11]|, 0
	v_trig_preop_f64 v[24:25], |v[10:11]|, 1
	;; [unrolled: 1-line block ×3, first 2 shown]
                                        ; implicit-def: $vgpr18_vgpr19
	s_and_saveexec_b64 s[24:25], s[20:21]
	s_xor_b64 s[24:25], exec, s[24:25]
	s_cbranch_execz .LBB5_38
; %bb.37:
	s_mov_b32 s26, 0
	s_mov_b32 s27, 0x7b000000
	v_and_b32_e32 v14, 0x7fffffff, v11
	v_ldexp_f64 v[12:13], |v[10:11]|, s4
	v_cmp_ge_f64_e64 vcc, |v[10:11]|, s[26:27]
	v_cndmask_b32_e32 v13, v14, v13, vcc
	v_cndmask_b32_e32 v12, v10, v12, vcc
	v_mul_f64 v[18:19], v[26:27], v[12:13]
	v_mul_f64 v[14:15], v[24:25], v[12:13]
	v_fma_f64 v[20:21], v[26:27], v[12:13], -v[18:19]
	v_add_f64 v[28:29], v[14:15], v[20:21]
	v_add_f64 v[30:31], v[18:19], v[28:29]
	s_mov_b32 s4, 0
	v_ldexp_f64 v[32:33], v[30:31], -2
	s_mov_b32 s5, 0x7ff00000
	v_fract_f64_e32 v[34:35], v[32:33]
	v_cmp_neq_f64_e64 vcc, |v[32:33]|, s[4:5]
	v_cndmask_b32_e32 v33, 0, v35, vcc
	v_cndmask_b32_e32 v32, 0, v34, vcc
	v_add_f64 v[34:35], v[28:29], -v[14:15]
	v_add_f64 v[20:21], v[20:21], -v[34:35]
	;; [unrolled: 1-line block ×4, first 2 shown]
	v_add_f64 v[20:21], v[20:21], v[34:35]
	v_fma_f64 v[14:15], v[24:25], v[12:13], -v[14:15]
	v_mul_f64 v[34:35], v[22:23], v[12:13]
	v_add_f64 v[38:39], v[34:35], v[14:15]
	v_add_f64 v[40:41], v[38:39], v[20:21]
	v_add_f64 v[18:19], v[30:31], -v[18:19]
	v_add_f64 v[30:31], v[40:41], -v[38:39]
	;; [unrolled: 1-line block ×5, first 2 shown]
	v_add_f64 v[20:21], v[20:21], v[30:31]
	v_add_f64 v[30:31], v[38:39], -v[34:35]
	v_add_f64 v[14:15], v[14:15], -v[30:31]
	;; [unrolled: 1-line block ×5, first 2 shown]
	v_add_f64 v[28:29], v[18:19], v[40:41]
	v_add_f64 v[14:15], v[14:15], v[30:31]
	v_add_f64 v[18:19], v[28:29], -v[18:19]
	v_add_f64 v[14:15], v[14:15], v[20:21]
	v_fma_f64 v[12:13], v[22:23], v[12:13], -v[34:35]
	v_add_f64 v[18:19], v[40:41], -v[18:19]
	v_add_f64 v[12:13], v[12:13], v[14:15]
	v_ldexp_f64 v[14:15], v[32:33], 2
	v_add_f64 v[12:13], v[18:19], v[12:13]
	v_add_f64 v[18:19], v[28:29], v[14:15]
	v_mov_b32_e32 v20, 0x40100000
	v_cmp_gt_f64_e32 vcc, 0, v[18:19]
	v_mov_b32_e32 v36, 0
	v_cndmask_b32_e32 v37, 0, v20, vcc
	v_add_f64 v[14:15], v[14:15], v[36:37]
	v_add_f64 v[18:19], v[28:29], v[14:15]
	v_cvt_i32_f64_e32 v20, v[18:19]
	v_cvt_f64_i32_e32 v[18:19], v20
	v_add_f64 v[14:15], v[14:15], -v[18:19]
	v_add_f64 v[18:19], v[28:29], v[14:15]
	v_add_f64 v[14:15], v[18:19], -v[14:15]
	v_add_f64 v[14:15], v[28:29], -v[14:15]
	v_add_f64 v[12:13], v[12:13], v[14:15]
	v_cmp_le_f64_e32 vcc, 0.5, v[18:19]
	v_mov_b32_e32 v14, 0x3ff00000
	v_cndmask_b32_e32 v37, 0, v14, vcc
	v_add_f64 v[14:15], v[18:19], -v[36:37]
	v_add_f64 v[18:19], v[14:15], v[12:13]
	v_addc_co_u32_e64 v29, s[4:5], 0, v20, vcc
	v_add_f64 v[14:15], v[18:19], -v[14:15]
	s_mov_b32 s23, 0x3ff921fb
	v_add_f64 v[12:13], v[12:13], -v[14:15]
	v_mul_f64 v[14:15], v[18:19], s[22:23]
	s_mov_b32 s4, 0x33145c07
	v_fma_f64 v[20:21], v[18:19], s[22:23], -v[14:15]
	s_mov_b32 s5, 0x3c91a626
	v_fmac_f64_e32 v[20:21], s[4:5], v[18:19]
	v_fmac_f64_e32 v[20:21], s[22:23], v[12:13]
	v_add_f64 v[18:19], v[14:15], v[20:21]
	v_add_f64 v[12:13], v[18:19], -v[14:15]
	v_add_f64 v[20:21], v[20:21], -v[12:13]
	s_andn2_saveexec_b64 s[4:5], s[24:25]
	s_cbranch_execz .LBB5_40
	s_branch .LBB5_39
.LBB5_38:
	s_andn2_saveexec_b64 s[4:5], s[24:25]
	s_cbranch_execz .LBB5_40
.LBB5_39:
	s_mov_b32 s22, 0x6dc9c883
	s_mov_b32 s23, 0x3fe45f30
	v_mul_f64 v[12:13], |v[10:11]|, s[22:23]
	s_mov_b32 s22, 0x54442d18
	v_rndne_f64_e32 v[12:13], v[12:13]
	s_mov_b32 s23, 0xbff921fb
	v_fma_f64 v[14:15], v[12:13], s[22:23], |v[10:11]|
	s_mov_b32 s23, 0xbc91a626
	s_mov_b32 s22, 0x33145c00
	v_mul_f64 v[18:19], v[12:13], s[22:23]
	v_add_f64 v[30:31], v[14:15], v[18:19]
	v_fma_f64 v[20:21], s[22:23], v[12:13], v[14:15]
	s_mov_b32 s23, 0x3c91a626
	v_add_f64 v[14:15], v[14:15], -v[30:31]
	v_fma_f64 v[28:29], s[22:23], v[12:13], v[18:19]
	v_add_f64 v[14:15], v[14:15], v[18:19]
	v_add_f64 v[18:19], v[30:31], -v[20:21]
	v_add_f64 v[14:15], v[18:19], v[14:15]
	s_mov_b32 s22, 0x252049c0
	v_add_f64 v[14:15], v[14:15], -v[28:29]
	s_mov_b32 s23, 0xb97b839a
	v_fmac_f64_e32 v[14:15], s[22:23], v[12:13]
	v_add_f64 v[18:19], v[20:21], v[14:15]
	v_add_f64 v[20:21], v[18:19], -v[20:21]
	v_add_f64 v[20:21], v[14:15], -v[20:21]
	v_cvt_i32_f64_e32 v29, v[12:13]
.LBB5_40:
	s_or_b64 exec, exec, s[4:5]
                                        ; implicit-def: $vgpr28
                                        ; implicit-def: $vgpr12_vgpr13
                                        ; implicit-def: $vgpr14_vgpr15
	s_and_saveexec_b64 s[4:5], s[20:21]
	s_xor_b64 s[20:21], exec, s[4:5]
	s_cbranch_execz .LBB5_42
; %bb.41:
	s_mov_b32 s4, 0
	s_mov_b32 s5, 0x7b000000
	s_movk_i32 s22, 0xff80
	v_and_b32_e32 v14, 0x7fffffff, v11
	v_ldexp_f64 v[12:13], |v[10:11]|, s22
	v_cmp_ge_f64_e64 vcc, |v[10:11]|, s[4:5]
	v_cndmask_b32_e32 v13, v14, v13, vcc
	v_cndmask_b32_e32 v12, v10, v12, vcc
	v_mul_f64 v[30:31], v[26:27], v[12:13]
	v_mul_f64 v[14:15], v[24:25], v[12:13]
	v_fma_f64 v[26:27], v[26:27], v[12:13], -v[30:31]
	v_add_f64 v[32:33], v[14:15], v[26:27]
	v_add_f64 v[34:35], v[30:31], v[32:33]
	s_mov_b32 s4, 0
	v_ldexp_f64 v[36:37], v[34:35], -2
	s_mov_b32 s5, 0x7ff00000
	v_fract_f64_e32 v[38:39], v[36:37]
	v_cmp_neq_f64_e64 vcc, |v[36:37]|, s[4:5]
	v_cndmask_b32_e32 v37, 0, v39, vcc
	v_cndmask_b32_e32 v36, 0, v38, vcc
	v_add_f64 v[38:39], v[32:33], -v[14:15]
	v_add_f64 v[26:27], v[26:27], -v[38:39]
	;; [unrolled: 1-line block ×4, first 2 shown]
	v_fma_f64 v[14:15], v[24:25], v[12:13], -v[14:15]
	v_mul_f64 v[24:25], v[22:23], v[12:13]
	v_add_f64 v[26:27], v[26:27], v[38:39]
	v_add_f64 v[38:39], v[24:25], v[14:15]
	;; [unrolled: 1-line block ×3, first 2 shown]
	v_add_f64 v[30:31], v[34:35], -v[30:31]
	v_add_f64 v[34:35], v[42:43], -v[38:39]
	v_add_f64 v[26:27], v[26:27], -v[34:35]
	v_add_f64 v[34:35], v[42:43], -v[34:35]
	v_add_f64 v[34:35], v[38:39], -v[34:35]
	v_add_f64 v[26:27], v[26:27], v[34:35]
	v_add_f64 v[34:35], v[38:39], -v[24:25]
	v_add_f64 v[14:15], v[14:15], -v[34:35]
	;; [unrolled: 1-line block ×4, first 2 shown]
	v_add_f64 v[14:15], v[14:15], v[34:35]
	v_add_f64 v[30:31], v[32:33], -v[30:31]
	v_add_f64 v[14:15], v[14:15], v[26:27]
	v_fma_f64 v[12:13], v[22:23], v[12:13], -v[24:25]
	v_add_f64 v[32:33], v[30:31], v[42:43]
	v_add_f64 v[12:13], v[12:13], v[14:15]
	v_ldexp_f64 v[14:15], v[36:37], 2
	v_add_f64 v[22:23], v[32:33], v[14:15]
	v_mov_b32_e32 v24, 0x40100000
	v_cmp_gt_f64_e32 vcc, 0, v[22:23]
	v_mov_b32_e32 v40, 0
	v_cndmask_b32_e32 v41, 0, v24, vcc
	v_add_f64 v[14:15], v[14:15], v[40:41]
	v_add_f64 v[22:23], v[32:33], v[14:15]
	v_cvt_i32_f64_e32 v24, v[22:23]
	v_cvt_f64_i32_e32 v[22:23], v24
	v_add_f64 v[14:15], v[14:15], -v[22:23]
	v_add_f64 v[30:31], v[32:33], -v[30:31]
	v_add_f64 v[22:23], v[32:33], v[14:15]
	v_add_f64 v[30:31], v[42:43], -v[30:31]
	v_add_f64 v[14:15], v[22:23], -v[14:15]
	v_add_f64 v[12:13], v[30:31], v[12:13]
	v_add_f64 v[14:15], v[32:33], -v[14:15]
	v_add_f64 v[12:13], v[12:13], v[14:15]
	v_cmp_le_f64_e32 vcc, 0.5, v[22:23]
	v_mov_b32_e32 v14, 0x3ff00000
	v_cndmask_b32_e32 v41, 0, v14, vcc
	v_addc_co_u32_e64 v28, s[4:5], 0, v24, vcc
	v_add_f64 v[14:15], v[22:23], -v[40:41]
	v_add_f64 v[22:23], v[14:15], v[12:13]
	s_mov_b32 s4, 0x54442d18
	v_add_f64 v[14:15], v[22:23], -v[14:15]
	s_mov_b32 s5, 0x3ff921fb
	v_add_f64 v[12:13], v[12:13], -v[14:15]
	v_mul_f64 v[14:15], v[22:23], s[4:5]
	s_mov_b32 s22, 0x33145c07
	v_fma_f64 v[24:25], v[22:23], s[4:5], -v[14:15]
	s_mov_b32 s23, 0x3c91a626
	v_fmac_f64_e32 v[24:25], s[22:23], v[22:23]
	v_fmac_f64_e32 v[24:25], s[4:5], v[12:13]
	v_add_f64 v[12:13], v[14:15], v[24:25]
	v_add_f64 v[14:15], v[12:13], -v[14:15]
	v_add_f64 v[14:15], v[24:25], -v[14:15]
	s_andn2_saveexec_b64 s[4:5], s[20:21]
	s_cbranch_execnz .LBB5_43
	s_branch .LBB5_44
.LBB5_42:
	s_andn2_saveexec_b64 s[4:5], s[20:21]
	s_cbranch_execz .LBB5_44
.LBB5_43:
	s_mov_b32 s20, 0x6dc9c883
	s_mov_b32 s21, 0x3fe45f30
	v_mul_f64 v[12:13], |v[10:11]|, s[20:21]
	s_mov_b32 s20, 0x54442d18
	v_rndne_f64_e32 v[22:23], v[12:13]
	s_mov_b32 s21, 0xbff921fb
	v_fma_f64 v[12:13], v[22:23], s[20:21], |v[10:11]|
	s_mov_b32 s21, 0xbc91a626
	s_mov_b32 s20, 0x33145c00
	v_mul_f64 v[24:25], v[22:23], s[20:21]
	v_add_f64 v[30:31], v[12:13], v[24:25]
	v_fma_f64 v[14:15], s[20:21], v[22:23], v[12:13]
	s_mov_b32 s21, 0x3c91a626
	v_add_f64 v[12:13], v[12:13], -v[30:31]
	v_fma_f64 v[26:27], s[20:21], v[22:23], v[24:25]
	v_add_f64 v[12:13], v[12:13], v[24:25]
	v_add_f64 v[24:25], v[30:31], -v[14:15]
	v_add_f64 v[12:13], v[24:25], v[12:13]
	s_mov_b32 s20, 0x252049c0
	v_add_f64 v[24:25], v[12:13], -v[26:27]
	s_mov_b32 s21, 0xb97b839a
	v_fmac_f64_e32 v[24:25], s[20:21], v[22:23]
	v_add_f64 v[12:13], v[14:15], v[24:25]
	v_add_f64 v[14:15], v[12:13], -v[14:15]
	v_add_f64 v[14:15], v[24:25], -v[14:15]
	v_cvt_i32_f64_e32 v28, v[22:23]
.LBB5_44:
	s_or_b64 exec, exec, s[4:5]
	v_div_scale_f64 v[22:23], s[4:5], v[16:17], v[16:17], 1.0
	v_rcp_f64_e32 v[24:25], v[22:23]
	v_div_scale_f64 v[26:27], vcc, 1.0, v[16:17], 1.0
	v_mov_b32_e32 v32, 0xb99518a7
	v_fma_f64 v[30:31], -v[22:23], v[24:25], 1.0
	v_fmac_f64_e32 v[24:25], v[24:25], v[30:31]
	v_fma_f64 v[30:31], -v[22:23], v[24:25], 1.0
	v_fmac_f64_e32 v[24:25], v[24:25], v[30:31]
	v_mul_f64 v[30:31], v[26:27], v[24:25]
	v_fma_f64 v[22:23], -v[22:23], v[30:31], v[26:27]
	v_div_fmas_f64 v[22:23], v[22:23], v[24:25], v[30:31]
	v_div_fixup_f64 v[16:17], v[22:23], v[16:17], 1.0
	v_mul_f64 v[22:23], v[16:17], v[16:17]
	v_mov_b32_e32 v24, 0xd50ae6fb
	v_mov_b32_e32 v25, 0xbfc0db6c
	v_fmac_f64_e32 v[24:25], 0, v[22:23]
	v_mov_b32_e32 v26, 0x98566852
	v_mov_b32_e32 v27, 0xbfe40bee
	v_fmac_f64_e32 v[26:27], v[22:23], v[24:25]
	;; [unrolled: 3-line block ×16, first 2 shown]
	v_mov_b32_e32 v33, 0x3e9e52b9
	v_mul_f64 v[34:35], v[18:19], v[18:19]
	v_fmac_f64_e32 v[32:33], v[22:23], v[30:31]
	v_mov_b32_e32 v30, 0xf68ea2d2
	v_mov_b32_e32 v31, 0xbe52041c
	v_mul_f64 v[24:25], v[34:35], 0.5
	v_fmac_f64_e32 v[30:31], v[22:23], v[26:27]
	v_add_f64 v[26:27], -v[24:25], 1.0
	s_mov_b32 s4, 0x9037ab78
	v_add_f64 v[36:37], -v[26:27], 1.0
	s_mov_b32 s5, 0x3e21eeb6
	s_mov_b32 s20, 0x46cc5e42
	v_add_f64 v[36:37], v[36:37], -v[24:25]
	s_mov_b32 s21, 0xbda907db
	v_pk_mov_b32 v[24:25], s[4:5], s[4:5] op_sel:[0,1]
	s_mov_b32 s22, 0xa17f65f6
	v_fma_f64 v[40:41], s[20:21], v[34:35], v[24:25]
	s_mov_b32 s23, 0xbe927e4f
	s_mov_b32 s24, 0x19f4ec90
	v_fma_f64 v[40:41], v[34:35], v[40:41], s[22:23]
	s_mov_b32 s25, 0x3efa01a0
	;; [unrolled: 3-line block ×4, first 2 shown]
	v_mul_f64 v[38:39], v[34:35], v[34:35]
	v_fma_f64 v[40:41], v[34:35], v[40:41], s[28:29]
	v_fma_f64 v[36:37], v[18:19], -v[20:21], v[36:37]
	s_mov_b32 s4, 0xb42fdfa7
	v_fmac_f64_e32 v[36:37], v[38:39], v[40:41]
	s_mov_b32 s5, 0xbe5ae600
	s_mov_b32 s30, 0xf9a43bb8
	v_add_f64 v[36:37], v[26:27], v[36:37]
	s_mov_b32 s31, 0x3de5e0b2
	v_pk_mov_b32 v[26:27], s[4:5], s[4:5] op_sel:[0,1]
	s_mov_b32 s34, 0x796cde01
	v_fma_f64 v[38:39], s[30:31], v[34:35], v[26:27]
	s_mov_b32 s35, 0x3ec71de3
	s_mov_b32 s36, 0x19e83e5c
	v_fma_f64 v[38:39], v[34:35], v[38:39], s[34:35]
	s_mov_b32 s37, 0xbf2a01a0
	;; [unrolled: 3-line block ×3, first 2 shown]
	v_fma_f64 v[38:39], v[34:35], v[38:39], s[38:39]
	v_mul_f64 v[40:41], v[18:19], -v[34:35]
	v_mul_f64 v[42:43], v[20:21], 0.5
	v_fmac_f64_e32 v[42:43], v[40:41], v[38:39]
	v_fma_f64 v[20:21], v[34:35], v[42:43], -v[20:21]
	s_mov_b32 s41, 0xbfc55555
	s_mov_b32 s40, s28
	v_fmac_f64_e32 v[20:21], s[40:41], v[40:41]
	v_add_f64 v[18:19], v[18:19], -v[20:21]
	v_and_b32_e32 v20, 1, v29
	v_cmp_eq_u32_e32 vcc, 0, v20
	v_cndmask_b32_e32 v34, v36, v18, vcc
	v_cndmask_b32_e32 v18, v37, v19, vcc
	v_lshlrev_b32_e32 v19, 30, v29
	v_xor_b32_e32 v19, v19, v11
	v_and_b32_e32 v19, 0x80000000, v19
	v_xor_b32_e32 v29, v18, v19
	v_mul_f64 v[18:19], v[22:23], v[30:31]
	v_div_scale_f64 v[20:21], s[4:5], v[32:33], v[32:33], v[18:19]
	v_rcp_f64_e32 v[30:31], v[20:21]
	s_movk_i32 s33, 0x1f8
	v_cmp_class_f64_e64 s[4:5], v[10:11], s33
	v_cndmask_b32_e64 v10, 0, v34, s[4:5]
	v_fma_f64 v[34:35], -v[20:21], v[30:31], 1.0
	v_fmac_f64_e32 v[30:31], v[30:31], v[34:35]
	v_fma_f64 v[34:35], -v[20:21], v[30:31], 1.0
	v_fmac_f64_e32 v[30:31], v[30:31], v[34:35]
	v_div_scale_f64 v[34:35], vcc, v[18:19], v[32:33], v[18:19]
	v_mul_f64 v[36:37], v[34:35], v[30:31]
	v_fma_f64 v[20:21], -v[20:21], v[36:37], v[34:35]
	s_mov_b32 s42, 0
	s_nop 0
	v_div_fmas_f64 v[20:21], v[20:21], v[30:31], v[36:37]
	v_div_fixup_f64 v[18:19], v[20:21], v[32:33], v[18:19]
	v_mov_b32_e32 v20, 0xddcfbbde
	v_mov_b32_e32 v21, 0x3f943525
	v_fmac_f64_e32 v[20:21], 0, v[22:23]
	v_mov_b32_e32 v30, 0x6437b7
	v_mov_b32_e32 v31, 0x3fd907d5
	v_fmac_f64_e32 v[30:31], v[22:23], v[20:21]
	;; [unrolled: 3-line block ×14, first 2 shown]
	v_mov_b32_e32 v32, 0x2b79dbce
	v_mov_b32_e32 v33, 0x4015e84e
	s_brev_b32 s43, 8
	v_mov_b32_e32 v40, 0x7ff80000
	v_fmac_f64_e32 v[32:33], v[22:23], v[30:31]
	v_mov_b32_e32 v30, 0xc195ece3
	v_mov_b32_e32 v31, 0x3fee8992
	v_cmp_gt_f64_e32 vcc, s[42:43], v[4:5]
	v_cndmask_b32_e64 v11, v40, v29, s[4:5]
	v_fmac_f64_e32 v[30:31], v[22:23], v[32:33]
	v_mov_b32_e32 v32, 0xed64a9ee
	v_mov_b32_e32 v33, 0x3fb6221d
	v_cndmask_b32_e64 v29, 0, 1, vcc
	v_fmac_f64_e32 v[32:33], v[22:23], v[30:31]
	v_mov_b32_e32 v30, 0x6be393bb
	v_mov_b32_e32 v31, 0x3f70e704
	v_lshlrev_b32_e32 v29, 8, v29
	v_fmac_f64_e32 v[30:31], v[22:23], v[32:33]
	v_mov_b32_e32 v32, 0xd603a5a0
	v_mov_b32_e32 v33, 0x3f1a8b61
	v_ldexp_f64 v[4:5], v[4:5], v29
	v_fmac_f64_e32 v[32:33], v[22:23], v[30:31]
	v_rsq_f64_e32 v[30:31], v[4:5]
	v_mov_b32_e32 v34, 0xdb0724e8
	v_mov_b32_e32 v35, 0x3eb3a845
	v_fmac_f64_e32 v[34:35], v[22:23], v[32:33]
	v_mul_f64 v[32:33], v[4:5], v[30:31]
	v_mul_f64 v[30:31], v[30:31], 0.5
	v_fma_f64 v[36:37], -v[30:31], v[32:33], 0.5
	v_fmac_f64_e32 v[32:33], v[32:33], v[36:37]
	v_fma_f64 v[38:39], -v[32:33], v[32:33], v[4:5]
	v_fmac_f64_e32 v[30:31], v[30:31], v[36:37]
	v_fmac_f64_e32 v[32:33], v[38:39], v[30:31]
	v_fma_f64 v[36:37], -v[32:33], v[32:33], v[4:5]
	v_mov_b32_e32 v29, 0xffffff80
	v_fmac_f64_e32 v[32:33], v[36:37], v[30:31]
	v_cndmask_b32_e32 v29, 0, v29, vcc
	v_ldexp_f64 v[30:31], v[32:33], v29
	v_mov_b32_e32 v29, 0x260
	v_cmp_class_f64_e32 vcc, v[4:5], v29
	s_mov_b32 s42, 0x50429b6d
	v_cndmask_b32_e32 v5, v31, v5, vcc
	v_cndmask_b32_e32 v4, v30, v4, vcc
	s_mov_b32 s43, 0x3fe20dd7
	v_div_scale_f64 v[30:31], s[44:45], v[4:5], v[4:5], s[42:43]
	v_rcp_f64_e32 v[32:33], v[30:31]
	v_mov_b32_e32 v36, 0x3dd589d4
	v_mov_b32_e32 v37, 0x3e351fc7
	v_fmac_f64_e32 v[36:37], v[22:23], v[34:35]
	v_fma_f64 v[22:23], -v[30:31], v[32:33], 1.0
	v_fmac_f64_e32 v[32:33], v[32:33], v[22:23]
	v_fma_f64 v[22:23], -v[30:31], v[32:33], 1.0
	v_fmac_f64_e32 v[32:33], v[32:33], v[22:23]
	v_div_scale_f64 v[22:23], vcc, s[42:43], v[4:5], s[42:43]
	v_mul_f64 v[34:35], v[22:23], v[32:33]
	v_fma_f64 v[22:23], -v[30:31], v[34:35], v[22:23]
	v_add_f64 v[18:19], v[18:19], 1.0
	s_nop 0
	v_div_fmas_f64 v[22:23], v[22:23], v[32:33], v[34:35]
	v_div_fixup_f64 v[4:5], v[22:23], v[4:5], s[42:43]
	v_mul_f64 v[22:23], v[12:13], v[12:13]
	v_mul_f64 v[30:31], v[22:23], 0.5
	v_fmac_f64_e32 v[24:25], s[20:21], v[22:23]
	v_add_f64 v[32:33], -v[30:31], 1.0
	v_fma_f64 v[24:25], v[22:23], v[24:25], s[22:23]
	v_add_f64 v[34:35], -v[32:33], 1.0
	v_fma_f64 v[24:25], v[22:23], v[24:25], s[24:25]
	v_add_f64 v[30:31], v[34:35], -v[30:31]
	v_fma_f64 v[24:25], v[22:23], v[24:25], s[26:27]
	v_fmac_f64_e32 v[26:27], s[30:31], v[22:23]
	v_mul_f64 v[34:35], v[22:23], v[22:23]
	v_fma_f64 v[24:25], v[22:23], v[24:25], s[28:29]
	v_fma_f64 v[30:31], v[12:13], -v[14:15], v[30:31]
	v_fma_f64 v[26:27], v[22:23], v[26:27], s[34:35]
	v_fmac_f64_e32 v[30:31], v[34:35], v[24:25]
	v_fma_f64 v[26:27], v[22:23], v[26:27], s[36:37]
	v_add_f64 v[24:25], v[32:33], v[30:31]
	v_fma_f64 v[26:27], v[22:23], v[26:27], s[38:39]
	v_mul_f64 v[30:31], v[12:13], -v[22:23]
	v_mul_f64 v[32:33], v[14:15], 0.5
	v_fmac_f64_e32 v[32:33], v[30:31], v[26:27]
	v_fma_f64 v[14:15], v[22:23], v[32:33], -v[14:15]
	v_fmac_f64_e32 v[14:15], s[40:41], v[30:31]
	v_add_f64 v[12:13], v[12:13], -v[14:15]
	v_and_b32_e32 v14, 1, v28
	v_cmp_eq_u32_e32 vcc, 0, v14
	v_xor_b32_e32 v13, 0x80000000, v13
	v_cndmask_b32_e32 v22, v12, v24, vcc
	v_lshlrev_b32_e32 v12, 30, v28
	v_cndmask_b32_e32 v23, v13, v25, vcc
	v_and_b32_e32 v24, 0x80000000, v12
	v_mul_f64 v[12:13], v[16:17], v[20:21]
	v_div_scale_f64 v[14:15], s[20:21], v[36:37], v[36:37], v[12:13]
	v_rcp_f64_e32 v[16:17], v[14:15]
	v_xor_b32_e32 v21, v23, v24
	v_cndmask_b32_e64 v20, 0, v22, s[4:5]
	v_cndmask_b32_e64 v21, v40, v21, s[4:5]
	v_fma_f64 v[22:23], -v[14:15], v[16:17], 1.0
	v_fmac_f64_e32 v[16:17], v[16:17], v[22:23]
	v_fma_f64 v[22:23], -v[14:15], v[16:17], 1.0
	v_fmac_f64_e32 v[16:17], v[16:17], v[22:23]
	v_div_scale_f64 v[22:23], vcc, v[12:13], v[36:37], v[12:13]
	v_mul_f64 v[24:25], v[22:23], v[16:17]
	v_fma_f64 v[14:15], -v[14:15], v[24:25], v[22:23]
	s_nop 1
	v_div_fmas_f64 v[14:15], v[14:15], v[16:17], v[24:25]
	v_div_fixup_f64 v[12:13], v[14:15], v[36:37], v[12:13]
	v_mul_f64 v[12:13], v[12:13], v[20:21]
	v_fma_f64 v[10:11], v[18:19], v[10:11], -v[12:13]
	v_mul_f64 v[4:5], v[4:5], v[10:11]
.LBB5_45:
	s_or_b64 exec, exec, s[14:15]
.LBB5_46:
	s_or_b64 exec, exec, s[12:13]
.LBB5_47:
	s_or_b64 exec, exec, s[10:11]
	s_mov_b32 s10, 0
	v_mov_b32_e32 v12, 0
	s_mov_b32 s11, 0x7ff00000
	v_mov_b32_e32 v13, 0x7ff80000
	s_waitcnt vmcnt(0)
	v_cmp_neq_f64_e64 s[4:5], |v[6:7]|, s[10:11]
	v_pk_mov_b32 v[10:11], v[12:13], v[12:13] op_sel:[0,1]
	s_and_saveexec_b64 s[12:13], s[4:5]
	s_cbranch_execz .LBB5_69
; %bb.48:
	s_mov_b32 s4, 0x872b020c
	s_mov_b32 s5, 0x4059f916
	v_cmp_nlt_f64_e32 vcc, s[4:5], v[6:7]
	v_pk_mov_b32 v[10:11], 0, 0
	s_and_saveexec_b64 s[14:15], vcc
	s_cbranch_execz .LBB5_68
; %bb.49:
	s_mov_b32 s5, 0xc000b851
	s_mov_b32 s4, 0xeb851eb8
	v_cmp_ngt_f64_e32 vcc, s[4:5], v[6:7]
	s_and_saveexec_b64 s[20:21], vcc
	s_xor_b64 s[20:21], exec, s[20:21]
	s_cbranch_execz .LBB5_57
; %bb.50:
	s_mov_b32 s5, 0x4000b851
	v_cmp_nle_f64_e64 s[22:23], s[4:5], v[6:7]
	v_cmp_le_f64_e32 vcc, s[4:5], v[6:7]
	v_pk_mov_b32 v[10:11], 0, 0
	s_mov_b64 s[4:5], s[22:23]
	s_and_saveexec_b64 s[24:25], vcc
	s_cbranch_execz .LBB5_52
; %bb.51:
	s_mov_b32 s4, 0
	s_brev_b32 s5, 8
	v_cmp_gt_f64_e32 vcc, s[4:5], v[6:7]
	v_cndmask_b32_e64 v10, 0, 1, vcc
	v_lshlrev_b32_e32 v10, 8, v10
	v_ldexp_f64 v[10:11], v[6:7], v10
	v_rsq_f64_e32 v[14:15], v[10:11]
	v_mov_b32_e32 v28, 0xffffff80
	v_mov_b32_e32 v29, 0x260
	v_add_f64 v[16:17], v[6:7], v[6:7]
	v_mul_f64 v[18:19], v[10:11], v[14:15]
	v_mul_f64 v[14:15], v[14:15], 0.5
	v_fma_f64 v[20:21], -v[14:15], v[18:19], 0.5
	v_fmac_f64_e32 v[18:19], v[18:19], v[20:21]
	v_fma_f64 v[22:23], -v[18:19], v[18:19], v[10:11]
	v_fmac_f64_e32 v[14:15], v[14:15], v[20:21]
	v_fmac_f64_e32 v[18:19], v[22:23], v[14:15]
	v_fma_f64 v[20:21], -v[18:19], v[18:19], v[10:11]
	v_fmac_f64_e32 v[18:19], v[20:21], v[14:15]
	v_cndmask_b32_e32 v14, 0, v28, vcc
	v_ldexp_f64 v[14:15], v[18:19], v14
	v_cmp_class_f64_e32 vcc, v[10:11], v29
	v_cndmask_b32_e32 v11, v15, v11, vcc
	v_cndmask_b32_e32 v10, v14, v10, vcc
	s_mov_b32 s26, 0
	v_mul_f64 v[14:15], v[16:17], v[10:11]
	s_mov_b32 s27, 0x40080000
	v_div_scale_f64 v[16:17], s[28:29], s[26:27], s[26:27], v[14:15]
	v_rcp_f64_e32 v[18:19], v[16:17]
	v_fma_f64 v[20:21], -v[16:17], v[18:19], 1.0
	v_fmac_f64_e32 v[18:19], v[18:19], v[20:21]
	v_fma_f64 v[20:21], -v[16:17], v[18:19], 1.0
	v_fmac_f64_e32 v[18:19], v[18:19], v[20:21]
	v_div_scale_f64 v[20:21], vcc, v[14:15], s[26:27], v[14:15]
	v_mul_f64 v[22:23], v[20:21], v[18:19]
	v_fma_f64 v[16:17], -v[16:17], v[22:23], v[20:21]
	s_nop 1
	v_div_fmas_f64 v[16:17], v[16:17], v[18:19], v[22:23]
	v_div_fixup_f64 v[14:15], v[16:17], s[26:27], v[14:15]
	v_div_scale_f64 v[16:17], s[26:27], v[14:15], v[14:15], 1.0
	v_rcp_f64_e32 v[18:19], v[16:17]
	v_fma_f64 v[20:21], -v[16:17], v[18:19], 1.0
	v_fmac_f64_e32 v[18:19], v[18:19], v[20:21]
	v_fma_f64 v[20:21], -v[16:17], v[18:19], 1.0
	v_fmac_f64_e32 v[18:19], v[18:19], v[20:21]
	v_div_scale_f64 v[20:21], vcc, 1.0, v[14:15], 1.0
	v_mul_f64 v[22:23], v[20:21], v[18:19]
	v_fma_f64 v[16:17], -v[16:17], v[22:23], v[20:21]
	v_mov_b32_e32 v20, 0x871a9067
	s_nop 0
	v_div_fmas_f64 v[16:17], v[16:17], v[18:19], v[22:23]
	v_div_fixup_f64 v[16:17], v[16:17], v[14:15], 1.0
	v_mov_b32_e32 v18, 0x2537b658
	v_mov_b32_e32 v19, 0x3fd62dae
	v_fmac_f64_e32 v[18:19], 0, v[16:17]
	v_mov_b32_e32 v21, 0x402803e3
	v_fmac_f64_e32 v[20:21], v[16:17], v[18:19]
	v_mov_b32_e32 v18, 0xde2e1e3
	v_mov_b32_e32 v19, 0x405311e5
	v_fmac_f64_e32 v[18:19], v[16:17], v[20:21]
	v_mov_b32_e32 v20, 0xee40073c
	;; [unrolled: 3-line block ×12, first 2 shown]
	v_mov_b32_e32 v21, 0x402c311b
	v_fmac_f64_e32 v[20:21], v[16:17], v[22:23]
	v_fma_f64 v[20:21], v[16:17], v[20:21], 1.0
	v_fma_f64 v[16:17], v[16:17], v[18:19], 1.0
	v_div_scale_f64 v[18:19], s[26:27], v[20:21], v[20:21], v[16:17]
	v_rcp_f64_e32 v[22:23], v[18:19]
	v_fma_f64 v[24:25], -v[18:19], v[22:23], 1.0
	v_fmac_f64_e32 v[22:23], v[22:23], v[24:25]
	v_fma_f64 v[24:25], -v[18:19], v[22:23], 1.0
	v_fmac_f64_e32 v[22:23], v[22:23], v[24:25]
	v_div_scale_f64 v[24:25], vcc, v[16:17], v[20:21], v[16:17]
	v_mul_f64 v[26:27], v[24:25], v[22:23]
	v_fma_f64 v[18:19], -v[18:19], v[26:27], v[24:25]
	s_nop 1
	v_div_fmas_f64 v[18:19], v[18:19], v[22:23], v[26:27]
	v_cmp_gt_f64_e32 vcc, s[4:5], v[10:11]
	v_div_fixup_f64 v[16:17], v[18:19], v[20:21], v[16:17]
	v_cndmask_b32_e64 v18, 0, 1, vcc
	v_lshlrev_b32_e32 v18, 8, v18
	v_ldexp_f64 v[10:11], v[10:11], v18
	v_rsq_f64_e32 v[18:19], v[10:11]
	s_mov_b32 s4, 0x50429b6d
	s_mov_b32 s5, 0x3fe20dd7
	v_mul_f64 v[16:17], v[16:17], s[4:5]
	v_mul_f64 v[20:21], v[10:11], v[18:19]
	v_mul_f64 v[18:19], v[18:19], 0.5
	v_fma_f64 v[22:23], -v[18:19], v[20:21], 0.5
	v_fmac_f64_e32 v[20:21], v[20:21], v[22:23]
	v_fma_f64 v[24:25], -v[20:21], v[20:21], v[10:11]
	v_fmac_f64_e32 v[18:19], v[18:19], v[22:23]
	v_fmac_f64_e32 v[20:21], v[24:25], v[18:19]
	v_fma_f64 v[22:23], -v[20:21], v[20:21], v[10:11]
	v_fmac_f64_e32 v[20:21], v[22:23], v[18:19]
	v_cndmask_b32_e32 v18, 0, v28, vcc
	s_mov_b32 s4, 0x652b82fe
	v_ldexp_f64 v[18:19], v[20:21], v18
	v_cmp_class_f64_e32 vcc, v[10:11], v29
	s_mov_b32 s5, 0x3ff71547
	v_cndmask_b32_e32 v11, v19, v11, vcc
	v_cndmask_b32_e32 v10, v18, v10, vcc
	v_mul_f64 v[18:19], v[14:15], s[4:5]
	s_mov_b32 s4, 0xfefa39ef
	v_rndne_f64_e32 v[18:19], v[18:19]
	s_mov_b32 s5, 0xbfe62e42
	v_fma_f64 v[20:21], s[4:5], v[18:19], v[14:15]
	s_mov_b32 s4, 0x3b39803f
	s_mov_b32 s5, 0xbc7abc9e
	v_fmac_f64_e32 v[20:21], s[4:5], v[18:19]
	s_mov_b32 s4, 0x6a5dcb37
	v_mov_b32_e32 v22, 0xfca7ab0c
	v_mov_b32_e32 v23, 0x3e928af3
	s_mov_b32 s5, 0x3e5ade15
	v_fmac_f64_e32 v[22:23], s[4:5], v[20:21]
	v_mov_b32_e32 v24, 0x623fde64
	v_mov_b32_e32 v25, 0x3ec71dee
	v_fmac_f64_e32 v[24:25], v[20:21], v[22:23]
	v_mov_b32_e32 v22, 0x7c89e6b0
	v_mov_b32_e32 v23, 0x3efa0199
	;; [unrolled: 3-line block ×8, first 2 shown]
	s_mov_b32 s4, 0
	v_fmac_f64_e32 v[22:23], v[20:21], v[24:25]
	s_mov_b32 s5, 0x40900000
	v_fma_f64 v[22:23], v[20:21], v[22:23], 1.0
	v_cmp_nlt_f64_e32 vcc, s[4:5], v[14:15]
	s_mov_b32 s4, 0
	v_fma_f64 v[20:21], v[20:21], v[22:23], 1.0
	v_cvt_i32_f64_e32 v18, v[18:19]
	s_mov_b32 s5, 0xc090cc00
	v_ldexp_f64 v[18:19], v[20:21], v18
	v_mov_b32_e32 v20, 0x7ff00000
	v_cmp_ngt_f64_e64 s[4:5], s[4:5], v[14:15]
	v_cndmask_b32_e32 v19, v20, v19, vcc
	s_and_b64 vcc, s[4:5], vcc
	v_add_f64 v[10:11], v[10:11], v[10:11]
	v_cndmask_b32_e64 v15, 0, v19, s[4:5]
	v_cndmask_b32_e32 v14, 0, v18, vcc
	v_mul_f64 v[10:11], v[10:11], v[14:15]
	v_div_scale_f64 v[14:15], s[4:5], v[10:11], v[10:11], v[16:17]
	v_rcp_f64_e32 v[18:19], v[14:15]
	s_mov_b32 s4, 0xfd0a823a
	s_mov_b32 s5, 0x4020a402
	v_fma_f64 v[20:21], -v[14:15], v[18:19], 1.0
	v_fmac_f64_e32 v[18:19], v[18:19], v[20:21]
	v_fma_f64 v[20:21], -v[14:15], v[18:19], 1.0
	v_fmac_f64_e32 v[18:19], v[18:19], v[20:21]
	v_div_scale_f64 v[20:21], vcc, v[16:17], v[10:11], v[16:17]
	v_mul_f64 v[22:23], v[20:21], v[18:19]
	v_fma_f64 v[14:15], -v[14:15], v[22:23], v[20:21]
	s_nop 1
	v_div_fmas_f64 v[14:15], v[14:15], v[18:19], v[22:23]
	v_cmp_nlt_f64_e32 vcc, s[4:5], v[6:7]
	s_andn2_b64 s[4:5], s[22:23], exec
	s_and_b64 s[26:27], vcc, exec
	v_div_fixup_f64 v[10:11], v[14:15], v[10:11], v[16:17]
	s_or_b64 s[4:5], s[4:5], s[26:27]
.LBB5_52:
	s_or_b64 exec, exec, s[24:25]
	s_and_saveexec_b64 s[24:25], s[4:5]
	s_cbranch_execz .LBB5_56
; %bb.53:
	v_mov_b32_e32 v22, 0
	v_mul_f64 v[14:15], v[6:7], v[6:7]
	v_mov_b32_e32 v23, 0x3ff00000
	s_mov_b32 s28, 0
	v_mul_f64 v[16:17], v[6:7], v[14:15]
	s_mov_b64 s[26:27], 0
	s_mov_b32 s29, 0x3cb00000
	v_pk_mov_b32 v[20:21], v[22:23], v[22:23] op_sel:[0,1]
	v_pk_mov_b32 v[18:19], v[6:7], v[6:7] op_sel:[0,1]
	;; [unrolled: 1-line block ×3, first 2 shown]
.LBB5_54:                               ; =>This Inner Loop Header: Depth=1
	v_mul_f64 v[22:23], v[16:17], v[22:23]
	v_add_f64 v[24:25], v[20:21], 1.0
	v_mul_f64 v[6:7], v[16:17], v[6:7]
	v_div_scale_f64 v[26:27], s[4:5], v[24:25], v[24:25], v[22:23]
	v_add_f64 v[30:31], v[24:25], 1.0
	v_rcp_f64_e32 v[32:33], v[26:27]
	v_div_scale_f64 v[34:35], s[4:5], v[30:31], v[30:31], v[6:7]
	v_rcp_f64_e32 v[38:39], v[34:35]
	v_fma_f64 v[40:41], -v[26:27], v[32:33], 1.0
	v_fmac_f64_e32 v[32:33], v[32:33], v[40:41]
	v_fma_f64 v[42:43], -v[26:27], v[32:33], 1.0
	v_fma_f64 v[40:41], -v[34:35], v[38:39], 1.0
	v_fmac_f64_e32 v[38:39], v[38:39], v[40:41]
	v_div_scale_f64 v[28:29], vcc, v[22:23], v[24:25], v[22:23]
	v_fmac_f64_e32 v[32:33], v[32:33], v[42:43]
	v_fma_f64 v[40:41], -v[34:35], v[38:39], 1.0
	v_div_scale_f64 v[36:37], s[4:5], v[6:7], v[30:31], v[6:7]
	v_mul_f64 v[42:43], v[28:29], v[32:33]
	v_fmac_f64_e32 v[38:39], v[38:39], v[40:41]
	v_fma_f64 v[26:27], -v[26:27], v[42:43], v[28:29]
	v_mul_f64 v[28:29], v[36:37], v[38:39]
	v_div_fmas_f64 v[26:27], v[26:27], v[32:33], v[42:43]
	v_fma_f64 v[32:33], -v[34:35], v[28:29], v[36:37]
	s_mov_b64 vcc, s[4:5]
	v_div_fixup_f64 v[22:23], v[26:27], v[24:25], v[22:23]
	v_div_fmas_f64 v[24:25], v[32:33], v[38:39], v[28:29]
	v_div_fixup_f64 v[6:7], v[24:25], v[30:31], v[6:7]
	v_div_scale_f64 v[24:25], s[4:5], v[30:31], v[30:31], v[22:23]
	v_add_f64 v[20:21], v[30:31], 1.0
	v_rcp_f64_e32 v[28:29], v[24:25]
	v_div_scale_f64 v[32:33], s[4:5], v[20:21], v[20:21], v[6:7]
	v_rcp_f64_e32 v[36:37], v[32:33]
	v_fma_f64 v[38:39], -v[24:25], v[28:29], 1.0
	v_fmac_f64_e32 v[28:29], v[28:29], v[38:39]
	v_fma_f64 v[40:41], -v[24:25], v[28:29], 1.0
	v_fma_f64 v[38:39], -v[32:33], v[36:37], 1.0
	v_div_scale_f64 v[26:27], vcc, v[22:23], v[30:31], v[22:23]
	v_fmac_f64_e32 v[36:37], v[36:37], v[38:39]
	v_fmac_f64_e32 v[28:29], v[28:29], v[40:41]
	v_fma_f64 v[38:39], -v[32:33], v[36:37], 1.0
	v_mul_f64 v[40:41], v[26:27], v[28:29]
	v_div_scale_f64 v[34:35], s[4:5], v[6:7], v[20:21], v[6:7]
	v_fmac_f64_e32 v[36:37], v[36:37], v[38:39]
	v_fma_f64 v[24:25], -v[24:25], v[40:41], v[26:27]
	v_mul_f64 v[26:27], v[34:35], v[36:37]
	v_div_fmas_f64 v[24:25], v[24:25], v[28:29], v[40:41]
	v_fma_f64 v[28:29], -v[32:33], v[26:27], v[34:35]
	v_div_fixup_f64 v[22:23], v[24:25], v[30:31], v[22:23]
	s_mov_b64 vcc, s[4:5]
	v_div_fmas_f64 v[24:25], v[28:29], v[36:37], v[26:27]
	v_add_f64 v[14:15], v[14:15], v[22:23]
	v_div_fixup_f64 v[6:7], v[24:25], v[20:21], v[6:7]
	v_div_scale_f64 v[24:25], s[4:5], v[14:15], v[14:15], v[22:23]
	v_rcp_f64_e32 v[26:27], v[24:25]
	v_div_scale_f64 v[28:29], vcc, v[22:23], v[14:15], v[22:23]
	v_add_f64 v[18:19], v[18:19], v[6:7]
	v_fma_f64 v[30:31], -v[24:25], v[26:27], 1.0
	v_fmac_f64_e32 v[26:27], v[26:27], v[30:31]
	v_fma_f64 v[30:31], -v[24:25], v[26:27], 1.0
	v_fmac_f64_e32 v[26:27], v[26:27], v[30:31]
	v_mul_f64 v[30:31], v[28:29], v[26:27]
	v_fma_f64 v[24:25], -v[24:25], v[30:31], v[28:29]
	v_div_fmas_f64 v[24:25], v[24:25], v[26:27], v[30:31]
	v_div_fixup_f64 v[24:25], v[24:25], v[14:15], v[22:23]
	v_cmp_ngt_f64_e64 s[4:5], |v[24:25]|, s[28:29]
	s_or_b64 s[26:27], s[4:5], s[26:27]
	s_andn2_b64 exec, exec, s[26:27]
	s_cbranch_execnz .LBB5_54
; %bb.55:
	s_or_b64 exec, exec, s[26:27]
	s_mov_b32 s4, 0x42b70f8b
	s_mov_b32 s5, 0xbfd0907f
	v_mul_f64 v[6:7], v[18:19], s[4:5]
	s_mov_b32 s4, 0x962715b8
	s_mov_b32 s5, 0x3fd6b8c7
	v_fmac_f64_e32 v[6:7], s[4:5], v[14:15]
	v_cndmask_b32_e64 v11, v11, v7, s[22:23]
	v_cndmask_b32_e64 v10, v10, v6, s[22:23]
.LBB5_56:
	s_or_b64 exec, exec, s[24:25]
.LBB5_57:
	s_andn2_saveexec_b64 s[20:21], s[20:21]
	s_cbranch_execz .LBB5_67
; %bb.58:
	s_mov_b32 s4, 0
	s_brev_b32 s5, 9
	v_cmp_lt_f64_e32 vcc, s[4:5], v[6:7]
	v_cndmask_b32_e64 v10, 0, 1, vcc
	v_lshlrev_b32_e32 v10, 8, v10
	v_ldexp_f64 v[10:11], -v[6:7], v10
	v_rsq_f64_e32 v[14:15], v[10:11]
	v_mul_f64 v[16:17], v[6:7], -2.0
	s_mov_b32 s22, 0
	s_mov_b32 s23, 0x40080000
	v_mul_f64 v[6:7], v[10:11], v[14:15]
	v_mul_f64 v[14:15], v[14:15], 0.5
	v_fma_f64 v[18:19], -v[14:15], v[6:7], 0.5
	v_fmac_f64_e32 v[6:7], v[6:7], v[18:19]
	v_fma_f64 v[20:21], -v[6:7], v[6:7], v[10:11]
	v_fmac_f64_e32 v[14:15], v[14:15], v[18:19]
	v_fmac_f64_e32 v[6:7], v[20:21], v[14:15]
	v_fma_f64 v[18:19], -v[6:7], v[6:7], v[10:11]
	v_fmac_f64_e32 v[6:7], v[18:19], v[14:15]
	v_mov_b32_e32 v14, 0xffffff80
	v_cndmask_b32_e32 v14, 0, v14, vcc
	v_ldexp_f64 v[6:7], v[6:7], v14
	v_mov_b32_e32 v14, 0x260
	v_cmp_class_f64_e32 vcc, v[10:11], v14
	v_cndmask_b32_e32 v7, v7, v11, vcc
	v_cndmask_b32_e32 v6, v6, v10, vcc
	v_mul_f64 v[10:11], v[16:17], v[6:7]
	v_div_scale_f64 v[14:15], s[4:5], s[22:23], s[22:23], v[10:11]
	v_rcp_f64_e32 v[16:17], v[14:15]
	s_mov_b32 s25, 0x3fe921fb
	s_mov_b32 s24, 0x54442d18
	s_movk_i32 s4, 0xff80
	v_fma_f64 v[18:19], -v[14:15], v[16:17], 1.0
	v_fmac_f64_e32 v[16:17], v[16:17], v[18:19]
	v_fma_f64 v[18:19], -v[14:15], v[16:17], 1.0
	v_fmac_f64_e32 v[16:17], v[16:17], v[18:19]
	v_div_scale_f64 v[18:19], vcc, v[10:11], s[22:23], v[10:11]
	v_mul_f64 v[20:21], v[18:19], v[16:17]
	v_fma_f64 v[14:15], -v[14:15], v[20:21], v[18:19]
                                        ; implicit-def: $vgpr31
                                        ; implicit-def: $vgpr22_vgpr23
	s_nop 1
	v_div_fmas_f64 v[14:15], v[14:15], v[16:17], v[20:21]
	v_div_fixup_f64 v[18:19], v[14:15], s[22:23], v[10:11]
	s_mov_b32 s22, 0
	v_add_f64 v[10:11], v[18:19], s[24:25]
	s_mov_b32 s23, 0x41d00000
	v_cmp_nlt_f64_e64 s[22:23], |v[10:11]|, s[22:23]
	v_trig_preop_f64 v[28:29], |v[10:11]|, 0
	v_trig_preop_f64 v[26:27], |v[10:11]|, 1
	v_trig_preop_f64 v[24:25], |v[10:11]|, 2
                                        ; implicit-def: $vgpr20_vgpr21
	s_and_saveexec_b64 s[26:27], s[22:23]
	s_xor_b64 s[26:27], exec, s[26:27]
	s_cbranch_execz .LBB5_60
; %bb.59:
	s_mov_b32 s28, 0
	s_mov_b32 s29, 0x7b000000
	v_and_b32_e32 v16, 0x7fffffff, v11
	v_ldexp_f64 v[14:15], |v[10:11]|, s4
	v_cmp_ge_f64_e64 vcc, |v[10:11]|, s[28:29]
	v_cndmask_b32_e32 v15, v16, v15, vcc
	v_cndmask_b32_e32 v14, v10, v14, vcc
	v_mul_f64 v[20:21], v[28:29], v[14:15]
	v_mul_f64 v[16:17], v[26:27], v[14:15]
	v_fma_f64 v[22:23], v[28:29], v[14:15], -v[20:21]
	v_add_f64 v[30:31], v[16:17], v[22:23]
	v_add_f64 v[32:33], v[20:21], v[30:31]
	s_mov_b32 s4, 0
	v_ldexp_f64 v[34:35], v[32:33], -2
	s_mov_b32 s5, 0x7ff00000
	v_fract_f64_e32 v[36:37], v[34:35]
	v_cmp_neq_f64_e64 vcc, |v[34:35]|, s[4:5]
	v_cndmask_b32_e32 v35, 0, v37, vcc
	v_cndmask_b32_e32 v34, 0, v36, vcc
	v_add_f64 v[36:37], v[30:31], -v[16:17]
	v_add_f64 v[22:23], v[22:23], -v[36:37]
	;; [unrolled: 1-line block ×4, first 2 shown]
	v_add_f64 v[22:23], v[22:23], v[36:37]
	v_fma_f64 v[16:17], v[26:27], v[14:15], -v[16:17]
	v_mul_f64 v[36:37], v[24:25], v[14:15]
	v_add_f64 v[40:41], v[36:37], v[16:17]
	v_add_f64 v[42:43], v[40:41], v[22:23]
	v_add_f64 v[20:21], v[32:33], -v[20:21]
	v_add_f64 v[32:33], v[42:43], -v[40:41]
	;; [unrolled: 1-line block ×5, first 2 shown]
	v_add_f64 v[22:23], v[22:23], v[32:33]
	v_add_f64 v[32:33], v[40:41], -v[36:37]
	v_add_f64 v[16:17], v[16:17], -v[32:33]
	;; [unrolled: 1-line block ×5, first 2 shown]
	v_add_f64 v[30:31], v[20:21], v[42:43]
	v_add_f64 v[16:17], v[16:17], v[32:33]
	v_add_f64 v[20:21], v[30:31], -v[20:21]
	v_add_f64 v[16:17], v[16:17], v[22:23]
	v_fma_f64 v[14:15], v[24:25], v[14:15], -v[36:37]
	v_add_f64 v[20:21], v[42:43], -v[20:21]
	v_add_f64 v[14:15], v[14:15], v[16:17]
	v_ldexp_f64 v[16:17], v[34:35], 2
	v_add_f64 v[14:15], v[20:21], v[14:15]
	v_add_f64 v[20:21], v[30:31], v[16:17]
	v_mov_b32_e32 v22, 0x40100000
	v_cmp_gt_f64_e32 vcc, 0, v[20:21]
	v_mov_b32_e32 v38, 0
	v_cndmask_b32_e32 v39, 0, v22, vcc
	v_add_f64 v[16:17], v[16:17], v[38:39]
	v_add_f64 v[20:21], v[30:31], v[16:17]
	v_cvt_i32_f64_e32 v22, v[20:21]
	v_cvt_f64_i32_e32 v[20:21], v22
	v_add_f64 v[16:17], v[16:17], -v[20:21]
	v_add_f64 v[20:21], v[30:31], v[16:17]
	v_add_f64 v[16:17], v[20:21], -v[16:17]
	v_add_f64 v[16:17], v[30:31], -v[16:17]
	v_add_f64 v[14:15], v[14:15], v[16:17]
	v_cmp_le_f64_e32 vcc, 0.5, v[20:21]
	v_mov_b32_e32 v16, 0x3ff00000
	v_cndmask_b32_e32 v39, 0, v16, vcc
	v_add_f64 v[16:17], v[20:21], -v[38:39]
	v_add_f64 v[20:21], v[16:17], v[14:15]
	v_addc_co_u32_e64 v31, s[4:5], 0, v22, vcc
	v_add_f64 v[16:17], v[20:21], -v[16:17]
	s_mov_b32 s25, 0x3ff921fb
	v_add_f64 v[14:15], v[14:15], -v[16:17]
	v_mul_f64 v[16:17], v[20:21], s[24:25]
	s_mov_b32 s4, 0x33145c07
	v_fma_f64 v[22:23], v[20:21], s[24:25], -v[16:17]
	s_mov_b32 s5, 0x3c91a626
	v_fmac_f64_e32 v[22:23], s[4:5], v[20:21]
	v_fmac_f64_e32 v[22:23], s[24:25], v[14:15]
	v_add_f64 v[20:21], v[16:17], v[22:23]
	v_add_f64 v[14:15], v[20:21], -v[16:17]
	v_add_f64 v[22:23], v[22:23], -v[14:15]
	s_andn2_saveexec_b64 s[4:5], s[26:27]
	s_cbranch_execz .LBB5_62
	s_branch .LBB5_61
.LBB5_60:
	s_andn2_saveexec_b64 s[4:5], s[26:27]
	s_cbranch_execz .LBB5_62
.LBB5_61:
	s_mov_b32 s24, 0x6dc9c883
	s_mov_b32 s25, 0x3fe45f30
	v_mul_f64 v[14:15], |v[10:11]|, s[24:25]
	s_mov_b32 s24, 0x54442d18
	v_rndne_f64_e32 v[14:15], v[14:15]
	s_mov_b32 s25, 0xbff921fb
	v_fma_f64 v[16:17], v[14:15], s[24:25], |v[10:11]|
	s_mov_b32 s25, 0xbc91a626
	s_mov_b32 s24, 0x33145c00
	v_mul_f64 v[20:21], v[14:15], s[24:25]
	v_add_f64 v[32:33], v[16:17], v[20:21]
	v_fma_f64 v[22:23], s[24:25], v[14:15], v[16:17]
	s_mov_b32 s25, 0x3c91a626
	v_add_f64 v[16:17], v[16:17], -v[32:33]
	v_fma_f64 v[30:31], s[24:25], v[14:15], v[20:21]
	v_add_f64 v[16:17], v[16:17], v[20:21]
	v_add_f64 v[20:21], v[32:33], -v[22:23]
	v_add_f64 v[16:17], v[20:21], v[16:17]
	s_mov_b32 s24, 0x252049c0
	v_add_f64 v[16:17], v[16:17], -v[30:31]
	s_mov_b32 s25, 0xb97b839a
	v_fmac_f64_e32 v[16:17], s[24:25], v[14:15]
	v_add_f64 v[20:21], v[22:23], v[16:17]
	v_add_f64 v[22:23], v[20:21], -v[22:23]
	v_add_f64 v[22:23], v[16:17], -v[22:23]
	v_cvt_i32_f64_e32 v31, v[14:15]
.LBB5_62:
	s_or_b64 exec, exec, s[4:5]
                                        ; implicit-def: $vgpr30
                                        ; implicit-def: $vgpr14_vgpr15
                                        ; implicit-def: $vgpr16_vgpr17
	s_and_saveexec_b64 s[4:5], s[22:23]
	s_xor_b64 s[22:23], exec, s[4:5]
	s_cbranch_execz .LBB5_64
; %bb.63:
	s_mov_b32 s4, 0
	s_mov_b32 s5, 0x7b000000
	s_movk_i32 s24, 0xff80
	v_and_b32_e32 v16, 0x7fffffff, v11
	v_ldexp_f64 v[14:15], |v[10:11]|, s24
	v_cmp_ge_f64_e64 vcc, |v[10:11]|, s[4:5]
	v_cndmask_b32_e32 v15, v16, v15, vcc
	v_cndmask_b32_e32 v14, v10, v14, vcc
	v_mul_f64 v[32:33], v[28:29], v[14:15]
	v_mul_f64 v[16:17], v[26:27], v[14:15]
	v_fma_f64 v[28:29], v[28:29], v[14:15], -v[32:33]
	v_add_f64 v[34:35], v[16:17], v[28:29]
	v_add_f64 v[36:37], v[32:33], v[34:35]
	s_mov_b32 s4, 0
	v_ldexp_f64 v[38:39], v[36:37], -2
	s_mov_b32 s5, 0x7ff00000
	v_fract_f64_e32 v[40:41], v[38:39]
	v_cmp_neq_f64_e64 vcc, |v[38:39]|, s[4:5]
	v_cndmask_b32_e32 v39, 0, v41, vcc
	v_cndmask_b32_e32 v38, 0, v40, vcc
	v_add_f64 v[40:41], v[34:35], -v[16:17]
	v_add_f64 v[28:29], v[28:29], -v[40:41]
	;; [unrolled: 1-line block ×4, first 2 shown]
	v_fma_f64 v[16:17], v[26:27], v[14:15], -v[16:17]
	v_mul_f64 v[26:27], v[24:25], v[14:15]
	v_add_f64 v[28:29], v[28:29], v[40:41]
	v_add_f64 v[40:41], v[26:27], v[16:17]
	;; [unrolled: 1-line block ×3, first 2 shown]
	v_add_f64 v[32:33], v[36:37], -v[32:33]
	v_add_f64 v[36:37], v[44:45], -v[40:41]
	;; [unrolled: 1-line block ×5, first 2 shown]
	v_add_f64 v[28:29], v[28:29], v[36:37]
	v_add_f64 v[36:37], v[40:41], -v[26:27]
	v_add_f64 v[16:17], v[16:17], -v[36:37]
	;; [unrolled: 1-line block ×4, first 2 shown]
	v_add_f64 v[16:17], v[16:17], v[36:37]
	v_add_f64 v[32:33], v[34:35], -v[32:33]
	v_add_f64 v[16:17], v[16:17], v[28:29]
	v_fma_f64 v[14:15], v[24:25], v[14:15], -v[26:27]
	v_add_f64 v[34:35], v[32:33], v[44:45]
	v_add_f64 v[14:15], v[14:15], v[16:17]
	v_ldexp_f64 v[16:17], v[38:39], 2
	v_add_f64 v[24:25], v[34:35], v[16:17]
	v_mov_b32_e32 v26, 0x40100000
	v_cmp_gt_f64_e32 vcc, 0, v[24:25]
	v_mov_b32_e32 v42, 0
	v_cndmask_b32_e32 v43, 0, v26, vcc
	v_add_f64 v[16:17], v[16:17], v[42:43]
	v_add_f64 v[24:25], v[34:35], v[16:17]
	v_cvt_i32_f64_e32 v26, v[24:25]
	v_cvt_f64_i32_e32 v[24:25], v26
	v_add_f64 v[16:17], v[16:17], -v[24:25]
	v_add_f64 v[32:33], v[34:35], -v[32:33]
	v_add_f64 v[24:25], v[34:35], v[16:17]
	v_add_f64 v[32:33], v[44:45], -v[32:33]
	v_add_f64 v[16:17], v[24:25], -v[16:17]
	v_add_f64 v[14:15], v[32:33], v[14:15]
	v_add_f64 v[16:17], v[34:35], -v[16:17]
	v_add_f64 v[14:15], v[14:15], v[16:17]
	v_cmp_le_f64_e32 vcc, 0.5, v[24:25]
	v_mov_b32_e32 v16, 0x3ff00000
	v_cndmask_b32_e32 v43, 0, v16, vcc
	v_addc_co_u32_e64 v30, s[4:5], 0, v26, vcc
	v_add_f64 v[16:17], v[24:25], -v[42:43]
	v_add_f64 v[24:25], v[16:17], v[14:15]
	s_mov_b32 s4, 0x54442d18
	v_add_f64 v[16:17], v[24:25], -v[16:17]
	s_mov_b32 s5, 0x3ff921fb
	v_add_f64 v[14:15], v[14:15], -v[16:17]
	v_mul_f64 v[16:17], v[24:25], s[4:5]
	s_mov_b32 s24, 0x33145c07
	v_fma_f64 v[26:27], v[24:25], s[4:5], -v[16:17]
	s_mov_b32 s25, 0x3c91a626
	v_fmac_f64_e32 v[26:27], s[24:25], v[24:25]
	v_fmac_f64_e32 v[26:27], s[4:5], v[14:15]
	v_add_f64 v[14:15], v[16:17], v[26:27]
	v_add_f64 v[16:17], v[14:15], -v[16:17]
	v_add_f64 v[16:17], v[26:27], -v[16:17]
	s_andn2_saveexec_b64 s[4:5], s[22:23]
	s_cbranch_execnz .LBB5_65
	s_branch .LBB5_66
.LBB5_64:
	s_andn2_saveexec_b64 s[4:5], s[22:23]
	s_cbranch_execz .LBB5_66
.LBB5_65:
	s_mov_b32 s22, 0x6dc9c883
	s_mov_b32 s23, 0x3fe45f30
	v_mul_f64 v[14:15], |v[10:11]|, s[22:23]
	s_mov_b32 s22, 0x54442d18
	v_rndne_f64_e32 v[24:25], v[14:15]
	s_mov_b32 s23, 0xbff921fb
	v_fma_f64 v[14:15], v[24:25], s[22:23], |v[10:11]|
	s_mov_b32 s23, 0xbc91a626
	s_mov_b32 s22, 0x33145c00
	v_mul_f64 v[26:27], v[24:25], s[22:23]
	v_add_f64 v[32:33], v[14:15], v[26:27]
	v_fma_f64 v[16:17], s[22:23], v[24:25], v[14:15]
	s_mov_b32 s23, 0x3c91a626
	v_add_f64 v[14:15], v[14:15], -v[32:33]
	v_fma_f64 v[28:29], s[22:23], v[24:25], v[26:27]
	v_add_f64 v[14:15], v[14:15], v[26:27]
	v_add_f64 v[26:27], v[32:33], -v[16:17]
	v_add_f64 v[14:15], v[26:27], v[14:15]
	s_mov_b32 s22, 0x252049c0
	v_add_f64 v[26:27], v[14:15], -v[28:29]
	s_mov_b32 s23, 0xb97b839a
	v_fmac_f64_e32 v[26:27], s[22:23], v[24:25]
	v_add_f64 v[14:15], v[16:17], v[26:27]
	v_add_f64 v[16:17], v[14:15], -v[16:17]
	v_add_f64 v[16:17], v[26:27], -v[16:17]
	v_cvt_i32_f64_e32 v30, v[24:25]
.LBB5_66:
	s_or_b64 exec, exec, s[4:5]
	v_div_scale_f64 v[24:25], s[4:5], v[18:19], v[18:19], 1.0
	v_rcp_f64_e32 v[26:27], v[24:25]
	v_div_scale_f64 v[28:29], vcc, 1.0, v[18:19], 1.0
	v_mov_b32_e32 v34, 0xb99518a7
	v_fma_f64 v[32:33], -v[24:25], v[26:27], 1.0
	v_fmac_f64_e32 v[26:27], v[26:27], v[32:33]
	v_fma_f64 v[32:33], -v[24:25], v[26:27], 1.0
	v_fmac_f64_e32 v[26:27], v[26:27], v[32:33]
	v_mul_f64 v[32:33], v[28:29], v[26:27]
	v_fma_f64 v[24:25], -v[24:25], v[32:33], v[28:29]
	v_div_fmas_f64 v[24:25], v[24:25], v[26:27], v[32:33]
	v_div_fixup_f64 v[18:19], v[24:25], v[18:19], 1.0
	v_mul_f64 v[24:25], v[18:19], v[18:19]
	v_mov_b32_e32 v26, 0xd50ae6fb
	v_mov_b32_e32 v27, 0xbfc0db6c
	v_fmac_f64_e32 v[26:27], 0, v[24:25]
	v_mov_b32_e32 v28, 0x98566852
	v_mov_b32_e32 v29, 0xbfe40bee
	v_fmac_f64_e32 v[28:29], v[24:25], v[26:27]
	;; [unrolled: 3-line block ×16, first 2 shown]
	v_mov_b32_e32 v35, 0x3e9e52b9
	v_mul_f64 v[36:37], v[20:21], v[20:21]
	v_fmac_f64_e32 v[34:35], v[24:25], v[32:33]
	v_mov_b32_e32 v32, 0xf68ea2d2
	v_mov_b32_e32 v33, 0xbe52041c
	v_mul_f64 v[26:27], v[36:37], 0.5
	v_fmac_f64_e32 v[32:33], v[24:25], v[28:29]
	v_add_f64 v[28:29], -v[26:27], 1.0
	s_mov_b32 s4, 0x9037ab78
	v_add_f64 v[38:39], -v[28:29], 1.0
	s_mov_b32 s5, 0x3e21eeb6
	s_mov_b32 s22, 0x46cc5e42
	v_add_f64 v[38:39], v[38:39], -v[26:27]
	s_mov_b32 s23, 0xbda907db
	v_pk_mov_b32 v[26:27], s[4:5], s[4:5] op_sel:[0,1]
	s_mov_b32 s24, 0xa17f65f6
	v_fma_f64 v[42:43], s[22:23], v[36:37], v[26:27]
	s_mov_b32 s25, 0xbe927e4f
	s_mov_b32 s26, 0x19f4ec90
	v_fma_f64 v[42:43], v[36:37], v[42:43], s[24:25]
	s_mov_b32 s27, 0x3efa01a0
	;; [unrolled: 3-line block ×4, first 2 shown]
	v_mul_f64 v[40:41], v[36:37], v[36:37]
	v_fma_f64 v[42:43], v[36:37], v[42:43], s[30:31]
	v_fma_f64 v[38:39], v[20:21], -v[22:23], v[38:39]
	s_mov_b32 s4, 0xb42fdfa7
	v_fmac_f64_e32 v[38:39], v[40:41], v[42:43]
	s_mov_b32 s5, 0xbe5ae600
	s_mov_b32 s34, 0xf9a43bb8
	v_add_f64 v[38:39], v[28:29], v[38:39]
	s_mov_b32 s35, 0x3de5e0b2
	v_pk_mov_b32 v[28:29], s[4:5], s[4:5] op_sel:[0,1]
	s_mov_b32 s36, 0x796cde01
	v_fma_f64 v[40:41], s[34:35], v[36:37], v[28:29]
	s_mov_b32 s37, 0x3ec71de3
	s_mov_b32 s38, 0x19e83e5c
	v_fma_f64 v[40:41], v[36:37], v[40:41], s[36:37]
	s_mov_b32 s39, 0xbf2a01a0
	;; [unrolled: 3-line block ×3, first 2 shown]
	v_fma_f64 v[40:41], v[36:37], v[40:41], s[40:41]
	v_mul_f64 v[42:43], v[20:21], -v[36:37]
	v_mul_f64 v[44:45], v[22:23], 0.5
	v_fmac_f64_e32 v[44:45], v[42:43], v[40:41]
	v_fma_f64 v[22:23], v[36:37], v[44:45], -v[22:23]
	s_mov_b32 s43, 0xbfc55555
	s_mov_b32 s42, s30
	v_fmac_f64_e32 v[22:23], s[42:43], v[42:43]
	v_add_f64 v[20:21], v[20:21], -v[22:23]
	v_and_b32_e32 v22, 1, v31
	v_cmp_eq_u32_e32 vcc, 0, v22
	v_cndmask_b32_e32 v36, v38, v20, vcc
	v_cndmask_b32_e32 v20, v39, v21, vcc
	v_lshlrev_b32_e32 v21, 30, v31
	v_xor_b32_e32 v21, v21, v11
	v_and_b32_e32 v21, 0x80000000, v21
	v_xor_b32_e32 v31, v20, v21
	v_mul_f64 v[20:21], v[24:25], v[32:33]
	v_div_scale_f64 v[22:23], s[4:5], v[34:35], v[34:35], v[20:21]
	v_rcp_f64_e32 v[32:33], v[22:23]
	s_movk_i32 s33, 0x1f8
	v_cmp_class_f64_e64 s[4:5], v[10:11], s33
	v_cndmask_b32_e64 v10, 0, v36, s[4:5]
	v_fma_f64 v[36:37], -v[22:23], v[32:33], 1.0
	v_fmac_f64_e32 v[32:33], v[32:33], v[36:37]
	v_fma_f64 v[36:37], -v[22:23], v[32:33], 1.0
	v_fmac_f64_e32 v[32:33], v[32:33], v[36:37]
	v_div_scale_f64 v[36:37], vcc, v[20:21], v[34:35], v[20:21]
	v_mul_f64 v[38:39], v[36:37], v[32:33]
	v_fma_f64 v[22:23], -v[22:23], v[38:39], v[36:37]
	s_mov_b32 s44, 0
	s_nop 0
	v_div_fmas_f64 v[22:23], v[22:23], v[32:33], v[38:39]
	v_div_fixup_f64 v[20:21], v[22:23], v[34:35], v[20:21]
	v_mov_b32_e32 v22, 0xddcfbbde
	v_mov_b32_e32 v23, 0x3f943525
	v_fmac_f64_e32 v[22:23], 0, v[24:25]
	v_mov_b32_e32 v32, 0x6437b7
	v_mov_b32_e32 v33, 0x3fd907d5
	v_fmac_f64_e32 v[32:33], v[24:25], v[22:23]
	;; [unrolled: 3-line block ×14, first 2 shown]
	v_mov_b32_e32 v34, 0x2b79dbce
	v_mov_b32_e32 v35, 0x4015e84e
	s_brev_b32 s45, 8
	v_mov_b32_e32 v42, 0x7ff80000
	v_fmac_f64_e32 v[34:35], v[24:25], v[32:33]
	v_mov_b32_e32 v32, 0xc195ece3
	v_mov_b32_e32 v33, 0x3fee8992
	v_cmp_gt_f64_e32 vcc, s[44:45], v[6:7]
	v_cndmask_b32_e64 v11, v42, v31, s[4:5]
	v_fmac_f64_e32 v[32:33], v[24:25], v[34:35]
	v_mov_b32_e32 v34, 0xed64a9ee
	v_mov_b32_e32 v35, 0x3fb6221d
	v_cndmask_b32_e64 v31, 0, 1, vcc
	v_fmac_f64_e32 v[34:35], v[24:25], v[32:33]
	v_mov_b32_e32 v32, 0x6be393bb
	v_mov_b32_e32 v33, 0x3f70e704
	v_lshlrev_b32_e32 v31, 8, v31
	v_fmac_f64_e32 v[32:33], v[24:25], v[34:35]
	v_mov_b32_e32 v34, 0xd603a5a0
	v_mov_b32_e32 v35, 0x3f1a8b61
	v_ldexp_f64 v[6:7], v[6:7], v31
	v_fmac_f64_e32 v[34:35], v[24:25], v[32:33]
	v_rsq_f64_e32 v[32:33], v[6:7]
	v_mov_b32_e32 v36, 0xdb0724e8
	v_mov_b32_e32 v37, 0x3eb3a845
	v_fmac_f64_e32 v[36:37], v[24:25], v[34:35]
	v_mul_f64 v[34:35], v[6:7], v[32:33]
	v_mul_f64 v[32:33], v[32:33], 0.5
	v_fma_f64 v[38:39], -v[32:33], v[34:35], 0.5
	v_fmac_f64_e32 v[34:35], v[34:35], v[38:39]
	v_fma_f64 v[40:41], -v[34:35], v[34:35], v[6:7]
	v_fmac_f64_e32 v[32:33], v[32:33], v[38:39]
	v_fmac_f64_e32 v[34:35], v[40:41], v[32:33]
	v_fma_f64 v[38:39], -v[34:35], v[34:35], v[6:7]
	v_mov_b32_e32 v31, 0xffffff80
	v_fmac_f64_e32 v[34:35], v[38:39], v[32:33]
	v_cndmask_b32_e32 v31, 0, v31, vcc
	v_ldexp_f64 v[32:33], v[34:35], v31
	v_mov_b32_e32 v31, 0x260
	v_cmp_class_f64_e32 vcc, v[6:7], v31
	s_mov_b32 s44, 0x50429b6d
	v_cndmask_b32_e32 v7, v33, v7, vcc
	v_cndmask_b32_e32 v6, v32, v6, vcc
	s_mov_b32 s45, 0x3fe20dd7
	v_div_scale_f64 v[32:33], s[46:47], v[6:7], v[6:7], s[44:45]
	v_rcp_f64_e32 v[34:35], v[32:33]
	v_mov_b32_e32 v38, 0x3dd589d4
	v_mov_b32_e32 v39, 0x3e351fc7
	v_fmac_f64_e32 v[38:39], v[24:25], v[36:37]
	v_fma_f64 v[24:25], -v[32:33], v[34:35], 1.0
	v_fmac_f64_e32 v[34:35], v[34:35], v[24:25]
	v_fma_f64 v[24:25], -v[32:33], v[34:35], 1.0
	v_fmac_f64_e32 v[34:35], v[34:35], v[24:25]
	v_div_scale_f64 v[24:25], vcc, s[44:45], v[6:7], s[44:45]
	v_mul_f64 v[36:37], v[24:25], v[34:35]
	v_fma_f64 v[24:25], -v[32:33], v[36:37], v[24:25]
	v_add_f64 v[20:21], v[20:21], 1.0
	s_nop 0
	v_div_fmas_f64 v[24:25], v[24:25], v[34:35], v[36:37]
	v_div_fixup_f64 v[6:7], v[24:25], v[6:7], s[44:45]
	v_mul_f64 v[24:25], v[14:15], v[14:15]
	v_mul_f64 v[32:33], v[24:25], 0.5
	v_fmac_f64_e32 v[26:27], s[22:23], v[24:25]
	v_add_f64 v[34:35], -v[32:33], 1.0
	v_fma_f64 v[26:27], v[24:25], v[26:27], s[24:25]
	v_add_f64 v[36:37], -v[34:35], 1.0
	v_fma_f64 v[26:27], v[24:25], v[26:27], s[26:27]
	v_add_f64 v[32:33], v[36:37], -v[32:33]
	v_fma_f64 v[26:27], v[24:25], v[26:27], s[28:29]
	v_fmac_f64_e32 v[28:29], s[34:35], v[24:25]
	v_mul_f64 v[36:37], v[24:25], v[24:25]
	v_fma_f64 v[26:27], v[24:25], v[26:27], s[30:31]
	v_fma_f64 v[32:33], v[14:15], -v[16:17], v[32:33]
	v_fma_f64 v[28:29], v[24:25], v[28:29], s[36:37]
	v_fmac_f64_e32 v[32:33], v[36:37], v[26:27]
	v_fma_f64 v[28:29], v[24:25], v[28:29], s[38:39]
	v_add_f64 v[26:27], v[34:35], v[32:33]
	v_fma_f64 v[28:29], v[24:25], v[28:29], s[40:41]
	v_mul_f64 v[32:33], v[14:15], -v[24:25]
	v_mul_f64 v[34:35], v[16:17], 0.5
	v_fmac_f64_e32 v[34:35], v[32:33], v[28:29]
	v_fma_f64 v[16:17], v[24:25], v[34:35], -v[16:17]
	v_fmac_f64_e32 v[16:17], s[42:43], v[32:33]
	v_add_f64 v[14:15], v[14:15], -v[16:17]
	v_and_b32_e32 v16, 1, v30
	v_cmp_eq_u32_e32 vcc, 0, v16
	v_xor_b32_e32 v15, 0x80000000, v15
	v_cndmask_b32_e32 v24, v14, v26, vcc
	v_lshlrev_b32_e32 v14, 30, v30
	v_cndmask_b32_e32 v25, v15, v27, vcc
	v_and_b32_e32 v26, 0x80000000, v14
	v_mul_f64 v[14:15], v[18:19], v[22:23]
	v_div_scale_f64 v[16:17], s[22:23], v[38:39], v[38:39], v[14:15]
	v_rcp_f64_e32 v[18:19], v[16:17]
	v_xor_b32_e32 v23, v25, v26
	v_cndmask_b32_e64 v22, 0, v24, s[4:5]
	v_cndmask_b32_e64 v23, v42, v23, s[4:5]
	v_fma_f64 v[24:25], -v[16:17], v[18:19], 1.0
	v_fmac_f64_e32 v[18:19], v[18:19], v[24:25]
	v_fma_f64 v[24:25], -v[16:17], v[18:19], 1.0
	v_fmac_f64_e32 v[18:19], v[18:19], v[24:25]
	v_div_scale_f64 v[24:25], vcc, v[14:15], v[38:39], v[14:15]
	v_mul_f64 v[26:27], v[24:25], v[18:19]
	v_fma_f64 v[16:17], -v[16:17], v[26:27], v[24:25]
	s_nop 1
	v_div_fmas_f64 v[16:17], v[16:17], v[18:19], v[26:27]
	v_div_fixup_f64 v[14:15], v[16:17], v[38:39], v[14:15]
	v_mul_f64 v[14:15], v[14:15], v[22:23]
	v_fma_f64 v[10:11], v[20:21], v[10:11], -v[14:15]
	v_mul_f64 v[10:11], v[6:7], v[10:11]
.LBB5_67:
	s_or_b64 exec, exec, s[20:21]
.LBB5_68:
	s_or_b64 exec, exec, s[14:15]
.LBB5_69:
	s_or_b64 exec, exec, s[12:13]
	v_cmp_neq_f64_e64 s[4:5], |v[8:9]|, s[10:11]
	s_and_saveexec_b64 s[10:11], s[4:5]
	s_cbranch_execz .LBB5_91
; %bb.70:
	s_mov_b32 s4, 0x872b020c
	s_mov_b32 s5, 0x4059f916
	v_cmp_nlt_f64_e32 vcc, s[4:5], v[8:9]
	v_pk_mov_b32 v[12:13], 0, 0
	s_and_saveexec_b64 s[12:13], vcc
	s_cbranch_execz .LBB5_90
; %bb.71:
	s_mov_b32 s5, 0xc000b851
	s_mov_b32 s4, 0xeb851eb8
	v_cmp_ngt_f64_e32 vcc, s[4:5], v[8:9]
	s_and_saveexec_b64 s[14:15], vcc
	s_xor_b64 s[14:15], exec, s[14:15]
	s_cbranch_execz .LBB5_79
; %bb.72:
	s_mov_b32 s5, 0x4000b851
	v_cmp_nle_f64_e64 s[20:21], s[4:5], v[8:9]
	v_cmp_le_f64_e32 vcc, s[4:5], v[8:9]
	v_pk_mov_b32 v[12:13], 0, 0
	s_mov_b64 s[4:5], s[20:21]
	s_and_saveexec_b64 s[22:23], vcc
	s_cbranch_execz .LBB5_74
; %bb.73:
	s_mov_b32 s4, 0
	s_brev_b32 s5, 8
	v_cmp_gt_f64_e32 vcc, s[4:5], v[8:9]
	v_cndmask_b32_e64 v6, 0, 1, vcc
	v_lshlrev_b32_e32 v6, 8, v6
	v_ldexp_f64 v[6:7], v[8:9], v6
	v_rsq_f64_e32 v[12:13], v[6:7]
	v_mov_b32_e32 v26, 0xffffff80
	v_mov_b32_e32 v27, 0x260
	v_add_f64 v[14:15], v[8:9], v[8:9]
	v_mul_f64 v[16:17], v[6:7], v[12:13]
	v_mul_f64 v[12:13], v[12:13], 0.5
	v_fma_f64 v[18:19], -v[12:13], v[16:17], 0.5
	v_fmac_f64_e32 v[16:17], v[16:17], v[18:19]
	v_fma_f64 v[20:21], -v[16:17], v[16:17], v[6:7]
	v_fmac_f64_e32 v[12:13], v[12:13], v[18:19]
	v_fmac_f64_e32 v[16:17], v[20:21], v[12:13]
	v_fma_f64 v[18:19], -v[16:17], v[16:17], v[6:7]
	v_fmac_f64_e32 v[16:17], v[18:19], v[12:13]
	v_cndmask_b32_e32 v12, 0, v26, vcc
	v_ldexp_f64 v[12:13], v[16:17], v12
	v_cmp_class_f64_e32 vcc, v[6:7], v27
	v_cndmask_b32_e32 v7, v13, v7, vcc
	v_cndmask_b32_e32 v6, v12, v6, vcc
	s_mov_b32 s24, 0
	v_mul_f64 v[12:13], v[14:15], v[6:7]
	s_mov_b32 s25, 0x40080000
	v_div_scale_f64 v[14:15], s[26:27], s[24:25], s[24:25], v[12:13]
	v_rcp_f64_e32 v[16:17], v[14:15]
	v_fma_f64 v[18:19], -v[14:15], v[16:17], 1.0
	v_fmac_f64_e32 v[16:17], v[16:17], v[18:19]
	v_fma_f64 v[18:19], -v[14:15], v[16:17], 1.0
	v_fmac_f64_e32 v[16:17], v[16:17], v[18:19]
	v_div_scale_f64 v[18:19], vcc, v[12:13], s[24:25], v[12:13]
	v_mul_f64 v[20:21], v[18:19], v[16:17]
	v_fma_f64 v[14:15], -v[14:15], v[20:21], v[18:19]
	s_nop 1
	v_div_fmas_f64 v[14:15], v[14:15], v[16:17], v[20:21]
	v_div_fixup_f64 v[12:13], v[14:15], s[24:25], v[12:13]
	v_div_scale_f64 v[14:15], s[24:25], v[12:13], v[12:13], 1.0
	v_rcp_f64_e32 v[16:17], v[14:15]
	v_fma_f64 v[18:19], -v[14:15], v[16:17], 1.0
	v_fmac_f64_e32 v[16:17], v[16:17], v[18:19]
	v_fma_f64 v[18:19], -v[14:15], v[16:17], 1.0
	v_fmac_f64_e32 v[16:17], v[16:17], v[18:19]
	v_div_scale_f64 v[18:19], vcc, 1.0, v[12:13], 1.0
	v_mul_f64 v[20:21], v[18:19], v[16:17]
	v_fma_f64 v[14:15], -v[14:15], v[20:21], v[18:19]
	v_mov_b32_e32 v18, 0x871a9067
	s_nop 0
	v_div_fmas_f64 v[14:15], v[14:15], v[16:17], v[20:21]
	v_div_fixup_f64 v[14:15], v[14:15], v[12:13], 1.0
	v_mov_b32_e32 v16, 0x2537b658
	v_mov_b32_e32 v17, 0x3fd62dae
	v_fmac_f64_e32 v[16:17], 0, v[14:15]
	v_mov_b32_e32 v19, 0x402803e3
	v_fmac_f64_e32 v[18:19], v[14:15], v[16:17]
	v_mov_b32_e32 v16, 0xde2e1e3
	v_mov_b32_e32 v17, 0x405311e5
	v_fmac_f64_e32 v[16:17], v[14:15], v[18:19]
	v_mov_b32_e32 v18, 0xee40073c
	;; [unrolled: 3-line block ×12, first 2 shown]
	v_mov_b32_e32 v19, 0x402c311b
	v_fmac_f64_e32 v[18:19], v[14:15], v[20:21]
	v_fma_f64 v[18:19], v[14:15], v[18:19], 1.0
	v_fma_f64 v[14:15], v[14:15], v[16:17], 1.0
	v_div_scale_f64 v[16:17], s[24:25], v[18:19], v[18:19], v[14:15]
	v_rcp_f64_e32 v[20:21], v[16:17]
	v_fma_f64 v[22:23], -v[16:17], v[20:21], 1.0
	v_fmac_f64_e32 v[20:21], v[20:21], v[22:23]
	v_fma_f64 v[22:23], -v[16:17], v[20:21], 1.0
	v_fmac_f64_e32 v[20:21], v[20:21], v[22:23]
	v_div_scale_f64 v[22:23], vcc, v[14:15], v[18:19], v[14:15]
	v_mul_f64 v[24:25], v[22:23], v[20:21]
	v_fma_f64 v[16:17], -v[16:17], v[24:25], v[22:23]
	s_nop 1
	v_div_fmas_f64 v[16:17], v[16:17], v[20:21], v[24:25]
	v_cmp_gt_f64_e32 vcc, s[4:5], v[6:7]
	v_div_fixup_f64 v[14:15], v[16:17], v[18:19], v[14:15]
	v_cndmask_b32_e64 v16, 0, 1, vcc
	v_lshlrev_b32_e32 v16, 8, v16
	v_ldexp_f64 v[6:7], v[6:7], v16
	v_rsq_f64_e32 v[16:17], v[6:7]
	s_mov_b32 s4, 0x50429b6d
	s_mov_b32 s5, 0x3fe20dd7
	v_mul_f64 v[14:15], v[14:15], s[4:5]
	v_mul_f64 v[18:19], v[6:7], v[16:17]
	v_mul_f64 v[16:17], v[16:17], 0.5
	v_fma_f64 v[20:21], -v[16:17], v[18:19], 0.5
	v_fmac_f64_e32 v[18:19], v[18:19], v[20:21]
	v_fma_f64 v[22:23], -v[18:19], v[18:19], v[6:7]
	v_fmac_f64_e32 v[16:17], v[16:17], v[20:21]
	v_fmac_f64_e32 v[18:19], v[22:23], v[16:17]
	v_fma_f64 v[20:21], -v[18:19], v[18:19], v[6:7]
	v_fmac_f64_e32 v[18:19], v[20:21], v[16:17]
	v_cndmask_b32_e32 v16, 0, v26, vcc
	s_mov_b32 s4, 0x652b82fe
	v_ldexp_f64 v[16:17], v[18:19], v16
	v_cmp_class_f64_e32 vcc, v[6:7], v27
	s_mov_b32 s5, 0x3ff71547
	v_cndmask_b32_e32 v7, v17, v7, vcc
	v_cndmask_b32_e32 v6, v16, v6, vcc
	v_mul_f64 v[16:17], v[12:13], s[4:5]
	s_mov_b32 s4, 0xfefa39ef
	v_rndne_f64_e32 v[16:17], v[16:17]
	s_mov_b32 s5, 0xbfe62e42
	v_fma_f64 v[18:19], s[4:5], v[16:17], v[12:13]
	s_mov_b32 s4, 0x3b39803f
	s_mov_b32 s5, 0xbc7abc9e
	v_fmac_f64_e32 v[18:19], s[4:5], v[16:17]
	s_mov_b32 s4, 0x6a5dcb37
	v_mov_b32_e32 v20, 0xfca7ab0c
	v_mov_b32_e32 v21, 0x3e928af3
	s_mov_b32 s5, 0x3e5ade15
	v_fmac_f64_e32 v[20:21], s[4:5], v[18:19]
	v_mov_b32_e32 v22, 0x623fde64
	v_mov_b32_e32 v23, 0x3ec71dee
	v_fmac_f64_e32 v[22:23], v[18:19], v[20:21]
	v_mov_b32_e32 v20, 0x7c89e6b0
	v_mov_b32_e32 v21, 0x3efa0199
	;; [unrolled: 3-line block ×8, first 2 shown]
	s_mov_b32 s4, 0
	v_fmac_f64_e32 v[20:21], v[18:19], v[22:23]
	s_mov_b32 s5, 0x40900000
	v_fma_f64 v[20:21], v[18:19], v[20:21], 1.0
	v_cmp_nlt_f64_e32 vcc, s[4:5], v[12:13]
	s_mov_b32 s4, 0
	v_fma_f64 v[18:19], v[18:19], v[20:21], 1.0
	v_cvt_i32_f64_e32 v16, v[16:17]
	s_mov_b32 s5, 0xc090cc00
	v_ldexp_f64 v[16:17], v[18:19], v16
	v_mov_b32_e32 v18, 0x7ff00000
	v_cmp_ngt_f64_e64 s[4:5], s[4:5], v[12:13]
	v_cndmask_b32_e32 v17, v18, v17, vcc
	s_and_b64 vcc, s[4:5], vcc
	v_add_f64 v[6:7], v[6:7], v[6:7]
	v_cndmask_b32_e64 v13, 0, v17, s[4:5]
	v_cndmask_b32_e32 v12, 0, v16, vcc
	v_mul_f64 v[6:7], v[6:7], v[12:13]
	v_div_scale_f64 v[12:13], s[4:5], v[6:7], v[6:7], v[14:15]
	v_rcp_f64_e32 v[16:17], v[12:13]
	s_mov_b32 s4, 0xfd0a823a
	s_mov_b32 s5, 0x4020a402
	v_fma_f64 v[18:19], -v[12:13], v[16:17], 1.0
	v_fmac_f64_e32 v[16:17], v[16:17], v[18:19]
	v_fma_f64 v[18:19], -v[12:13], v[16:17], 1.0
	v_fmac_f64_e32 v[16:17], v[16:17], v[18:19]
	v_div_scale_f64 v[18:19], vcc, v[14:15], v[6:7], v[14:15]
	v_mul_f64 v[20:21], v[18:19], v[16:17]
	v_fma_f64 v[12:13], -v[12:13], v[20:21], v[18:19]
	s_nop 1
	v_div_fmas_f64 v[12:13], v[12:13], v[16:17], v[20:21]
	v_cmp_nlt_f64_e32 vcc, s[4:5], v[8:9]
	s_andn2_b64 s[4:5], s[20:21], exec
	s_and_b64 s[24:25], vcc, exec
	v_div_fixup_f64 v[12:13], v[12:13], v[6:7], v[14:15]
	s_or_b64 s[4:5], s[4:5], s[24:25]
.LBB5_74:
	s_or_b64 exec, exec, s[22:23]
	s_and_saveexec_b64 s[22:23], s[4:5]
	s_cbranch_execz .LBB5_78
; %bb.75:
	v_mov_b32_e32 v20, 0
	v_mul_f64 v[6:7], v[8:9], v[8:9]
	v_mov_b32_e32 v21, 0x3ff00000
	s_mov_b32 s26, 0
	v_mul_f64 v[14:15], v[8:9], v[6:7]
	s_mov_b64 s[24:25], 0
	s_mov_b32 s27, 0x3cb00000
	v_pk_mov_b32 v[18:19], v[20:21], v[20:21] op_sel:[0,1]
	v_pk_mov_b32 v[16:17], v[8:9], v[8:9] op_sel:[0,1]
	v_pk_mov_b32 v[6:7], v[20:21], v[20:21] op_sel:[0,1]
.LBB5_76:                               ; =>This Inner Loop Header: Depth=1
	v_mul_f64 v[20:21], v[14:15], v[20:21]
	v_add_f64 v[22:23], v[18:19], 1.0
	v_mul_f64 v[8:9], v[14:15], v[8:9]
	v_div_scale_f64 v[24:25], s[4:5], v[22:23], v[22:23], v[20:21]
	v_add_f64 v[28:29], v[22:23], 1.0
	v_rcp_f64_e32 v[30:31], v[24:25]
	v_div_scale_f64 v[32:33], s[4:5], v[28:29], v[28:29], v[8:9]
	v_rcp_f64_e32 v[36:37], v[32:33]
	v_fma_f64 v[38:39], -v[24:25], v[30:31], 1.0
	v_fmac_f64_e32 v[30:31], v[30:31], v[38:39]
	v_fma_f64 v[40:41], -v[24:25], v[30:31], 1.0
	v_fma_f64 v[38:39], -v[32:33], v[36:37], 1.0
	v_fmac_f64_e32 v[36:37], v[36:37], v[38:39]
	v_div_scale_f64 v[26:27], vcc, v[20:21], v[22:23], v[20:21]
	v_fmac_f64_e32 v[30:31], v[30:31], v[40:41]
	v_fma_f64 v[38:39], -v[32:33], v[36:37], 1.0
	v_div_scale_f64 v[34:35], s[4:5], v[8:9], v[28:29], v[8:9]
	v_mul_f64 v[40:41], v[26:27], v[30:31]
	v_fmac_f64_e32 v[36:37], v[36:37], v[38:39]
	v_fma_f64 v[24:25], -v[24:25], v[40:41], v[26:27]
	v_mul_f64 v[26:27], v[34:35], v[36:37]
	v_div_fmas_f64 v[24:25], v[24:25], v[30:31], v[40:41]
	v_fma_f64 v[30:31], -v[32:33], v[26:27], v[34:35]
	s_mov_b64 vcc, s[4:5]
	v_div_fixup_f64 v[20:21], v[24:25], v[22:23], v[20:21]
	v_div_fmas_f64 v[22:23], v[30:31], v[36:37], v[26:27]
	v_div_fixup_f64 v[8:9], v[22:23], v[28:29], v[8:9]
	v_div_scale_f64 v[22:23], s[4:5], v[28:29], v[28:29], v[20:21]
	v_add_f64 v[18:19], v[28:29], 1.0
	v_rcp_f64_e32 v[26:27], v[22:23]
	v_div_scale_f64 v[30:31], s[4:5], v[18:19], v[18:19], v[8:9]
	v_rcp_f64_e32 v[34:35], v[30:31]
	v_fma_f64 v[36:37], -v[22:23], v[26:27], 1.0
	v_fmac_f64_e32 v[26:27], v[26:27], v[36:37]
	v_fma_f64 v[38:39], -v[22:23], v[26:27], 1.0
	v_fma_f64 v[36:37], -v[30:31], v[34:35], 1.0
	v_div_scale_f64 v[24:25], vcc, v[20:21], v[28:29], v[20:21]
	v_fmac_f64_e32 v[34:35], v[34:35], v[36:37]
	v_fmac_f64_e32 v[26:27], v[26:27], v[38:39]
	v_fma_f64 v[36:37], -v[30:31], v[34:35], 1.0
	v_mul_f64 v[38:39], v[24:25], v[26:27]
	v_div_scale_f64 v[32:33], s[4:5], v[8:9], v[18:19], v[8:9]
	v_fmac_f64_e32 v[34:35], v[34:35], v[36:37]
	v_fma_f64 v[22:23], -v[22:23], v[38:39], v[24:25]
	v_mul_f64 v[24:25], v[32:33], v[34:35]
	v_div_fmas_f64 v[22:23], v[22:23], v[26:27], v[38:39]
	v_fma_f64 v[26:27], -v[30:31], v[24:25], v[32:33]
	v_div_fixup_f64 v[20:21], v[22:23], v[28:29], v[20:21]
	s_mov_b64 vcc, s[4:5]
	v_div_fmas_f64 v[22:23], v[26:27], v[34:35], v[24:25]
	v_add_f64 v[6:7], v[6:7], v[20:21]
	v_div_fixup_f64 v[8:9], v[22:23], v[18:19], v[8:9]
	v_div_scale_f64 v[22:23], s[4:5], v[6:7], v[6:7], v[20:21]
	v_rcp_f64_e32 v[24:25], v[22:23]
	v_div_scale_f64 v[26:27], vcc, v[20:21], v[6:7], v[20:21]
	v_add_f64 v[16:17], v[16:17], v[8:9]
	v_fma_f64 v[28:29], -v[22:23], v[24:25], 1.0
	v_fmac_f64_e32 v[24:25], v[24:25], v[28:29]
	v_fma_f64 v[28:29], -v[22:23], v[24:25], 1.0
	v_fmac_f64_e32 v[24:25], v[24:25], v[28:29]
	v_mul_f64 v[28:29], v[26:27], v[24:25]
	v_fma_f64 v[22:23], -v[22:23], v[28:29], v[26:27]
	v_div_fmas_f64 v[22:23], v[22:23], v[24:25], v[28:29]
	v_div_fixup_f64 v[22:23], v[22:23], v[6:7], v[20:21]
	v_cmp_ngt_f64_e64 s[4:5], |v[22:23]|, s[26:27]
	s_or_b64 s[24:25], s[4:5], s[24:25]
	s_andn2_b64 exec, exec, s[24:25]
	s_cbranch_execnz .LBB5_76
; %bb.77:
	s_or_b64 exec, exec, s[24:25]
	s_mov_b32 s4, 0x42b70f8b
	s_mov_b32 s5, 0xbfd0907f
	v_mul_f64 v[8:9], v[16:17], s[4:5]
	s_mov_b32 s4, 0x962715b8
	s_mov_b32 s5, 0x3fd6b8c7
	v_fmac_f64_e32 v[8:9], s[4:5], v[6:7]
	v_cndmask_b32_e64 v13, v13, v9, s[20:21]
	v_cndmask_b32_e64 v12, v12, v8, s[20:21]
.LBB5_78:
	s_or_b64 exec, exec, s[22:23]
                                        ; implicit-def: $vgpr8_vgpr9
.LBB5_79:
	s_andn2_saveexec_b64 s[14:15], s[14:15]
	s_cbranch_execz .LBB5_89
; %bb.80:
	s_mov_b32 s4, 0
	s_brev_b32 s5, 9
	v_cmp_lt_f64_e32 vcc, s[4:5], v[8:9]
	v_cndmask_b32_e64 v6, 0, 1, vcc
	v_lshlrev_b32_e32 v6, 8, v6
	v_ldexp_f64 v[6:7], -v[8:9], v6
	v_rsq_f64_e32 v[12:13], v[6:7]
	v_mul_f64 v[8:9], v[8:9], -2.0
	s_mov_b32 s20, 0
	s_mov_b32 s21, 0x40080000
	v_mul_f64 v[14:15], v[6:7], v[12:13]
	v_mul_f64 v[12:13], v[12:13], 0.5
	v_fma_f64 v[16:17], -v[12:13], v[14:15], 0.5
	v_fmac_f64_e32 v[14:15], v[14:15], v[16:17]
	v_fma_f64 v[18:19], -v[14:15], v[14:15], v[6:7]
	v_fmac_f64_e32 v[12:13], v[12:13], v[16:17]
	v_fmac_f64_e32 v[14:15], v[18:19], v[12:13]
	v_fma_f64 v[16:17], -v[14:15], v[14:15], v[6:7]
	v_fmac_f64_e32 v[14:15], v[16:17], v[12:13]
	v_mov_b32_e32 v12, 0xffffff80
	v_cndmask_b32_e32 v12, 0, v12, vcc
	v_ldexp_f64 v[12:13], v[14:15], v12
	v_mov_b32_e32 v14, 0x260
	v_cmp_class_f64_e32 vcc, v[6:7], v14
	v_cndmask_b32_e32 v7, v13, v7, vcc
	v_cndmask_b32_e32 v6, v12, v6, vcc
	v_mul_f64 v[8:9], v[8:9], v[6:7]
	v_div_scale_f64 v[12:13], s[4:5], s[20:21], s[20:21], v[8:9]
	v_rcp_f64_e32 v[14:15], v[12:13]
	s_mov_b32 s23, 0x3fe921fb
	s_mov_b32 s22, 0x54442d18
	s_movk_i32 s4, 0xff80
	v_fma_f64 v[16:17], -v[12:13], v[14:15], 1.0
	v_fmac_f64_e32 v[14:15], v[14:15], v[16:17]
	v_fma_f64 v[16:17], -v[12:13], v[14:15], 1.0
	v_fmac_f64_e32 v[14:15], v[14:15], v[16:17]
	v_div_scale_f64 v[16:17], vcc, v[8:9], s[20:21], v[8:9]
	v_mul_f64 v[18:19], v[16:17], v[14:15]
	v_fma_f64 v[12:13], -v[12:13], v[18:19], v[16:17]
                                        ; implicit-def: $vgpr29
                                        ; implicit-def: $vgpr20_vgpr21
	s_nop 1
	v_div_fmas_f64 v[12:13], v[12:13], v[14:15], v[18:19]
	v_div_fixup_f64 v[16:17], v[12:13], s[20:21], v[8:9]
	s_mov_b32 s20, 0
	v_add_f64 v[8:9], v[16:17], s[22:23]
	s_mov_b32 s21, 0x41d00000
	v_cmp_nlt_f64_e64 s[20:21], |v[8:9]|, s[20:21]
	v_trig_preop_f64 v[26:27], |v[8:9]|, 0
	v_trig_preop_f64 v[24:25], |v[8:9]|, 1
	;; [unrolled: 1-line block ×3, first 2 shown]
                                        ; implicit-def: $vgpr18_vgpr19
	s_and_saveexec_b64 s[24:25], s[20:21]
	s_xor_b64 s[24:25], exec, s[24:25]
	s_cbranch_execz .LBB5_82
; %bb.81:
	s_mov_b32 s26, 0
	s_mov_b32 s27, 0x7b000000
	v_and_b32_e32 v14, 0x7fffffff, v9
	v_ldexp_f64 v[12:13], |v[8:9]|, s4
	v_cmp_ge_f64_e64 vcc, |v[8:9]|, s[26:27]
	v_cndmask_b32_e32 v13, v14, v13, vcc
	v_cndmask_b32_e32 v12, v8, v12, vcc
	v_mul_f64 v[18:19], v[26:27], v[12:13]
	v_mul_f64 v[14:15], v[24:25], v[12:13]
	v_fma_f64 v[20:21], v[26:27], v[12:13], -v[18:19]
	v_add_f64 v[28:29], v[14:15], v[20:21]
	v_add_f64 v[30:31], v[18:19], v[28:29]
	s_mov_b32 s4, 0
	v_ldexp_f64 v[32:33], v[30:31], -2
	s_mov_b32 s5, 0x7ff00000
	v_fract_f64_e32 v[34:35], v[32:33]
	v_cmp_neq_f64_e64 vcc, |v[32:33]|, s[4:5]
	v_cndmask_b32_e32 v33, 0, v35, vcc
	v_cndmask_b32_e32 v32, 0, v34, vcc
	v_add_f64 v[34:35], v[28:29], -v[14:15]
	v_add_f64 v[20:21], v[20:21], -v[34:35]
	;; [unrolled: 1-line block ×4, first 2 shown]
	v_add_f64 v[20:21], v[20:21], v[34:35]
	v_fma_f64 v[14:15], v[24:25], v[12:13], -v[14:15]
	v_mul_f64 v[34:35], v[22:23], v[12:13]
	v_add_f64 v[38:39], v[34:35], v[14:15]
	v_add_f64 v[40:41], v[38:39], v[20:21]
	v_add_f64 v[18:19], v[30:31], -v[18:19]
	v_add_f64 v[30:31], v[40:41], -v[38:39]
	;; [unrolled: 1-line block ×5, first 2 shown]
	v_add_f64 v[20:21], v[20:21], v[30:31]
	v_add_f64 v[30:31], v[38:39], -v[34:35]
	v_add_f64 v[14:15], v[14:15], -v[30:31]
	v_add_f64 v[30:31], v[38:39], -v[30:31]
	v_add_f64 v[18:19], v[28:29], -v[18:19]
	v_add_f64 v[30:31], v[34:35], -v[30:31]
	v_add_f64 v[28:29], v[18:19], v[40:41]
	v_add_f64 v[14:15], v[14:15], v[30:31]
	v_add_f64 v[18:19], v[28:29], -v[18:19]
	v_add_f64 v[14:15], v[14:15], v[20:21]
	v_fma_f64 v[12:13], v[22:23], v[12:13], -v[34:35]
	v_add_f64 v[18:19], v[40:41], -v[18:19]
	v_add_f64 v[12:13], v[12:13], v[14:15]
	v_ldexp_f64 v[14:15], v[32:33], 2
	v_add_f64 v[12:13], v[18:19], v[12:13]
	v_add_f64 v[18:19], v[28:29], v[14:15]
	v_mov_b32_e32 v20, 0x40100000
	v_cmp_gt_f64_e32 vcc, 0, v[18:19]
	v_mov_b32_e32 v36, 0
	v_cndmask_b32_e32 v37, 0, v20, vcc
	v_add_f64 v[14:15], v[14:15], v[36:37]
	v_add_f64 v[18:19], v[28:29], v[14:15]
	v_cvt_i32_f64_e32 v20, v[18:19]
	v_cvt_f64_i32_e32 v[18:19], v20
	v_add_f64 v[14:15], v[14:15], -v[18:19]
	v_add_f64 v[18:19], v[28:29], v[14:15]
	v_add_f64 v[14:15], v[18:19], -v[14:15]
	v_add_f64 v[14:15], v[28:29], -v[14:15]
	v_add_f64 v[12:13], v[12:13], v[14:15]
	v_cmp_le_f64_e32 vcc, 0.5, v[18:19]
	v_mov_b32_e32 v14, 0x3ff00000
	v_cndmask_b32_e32 v37, 0, v14, vcc
	v_add_f64 v[14:15], v[18:19], -v[36:37]
	v_add_f64 v[18:19], v[14:15], v[12:13]
	v_addc_co_u32_e64 v29, s[4:5], 0, v20, vcc
	v_add_f64 v[14:15], v[18:19], -v[14:15]
	s_mov_b32 s23, 0x3ff921fb
	v_add_f64 v[12:13], v[12:13], -v[14:15]
	v_mul_f64 v[14:15], v[18:19], s[22:23]
	s_mov_b32 s4, 0x33145c07
	v_fma_f64 v[20:21], v[18:19], s[22:23], -v[14:15]
	s_mov_b32 s5, 0x3c91a626
	v_fmac_f64_e32 v[20:21], s[4:5], v[18:19]
	v_fmac_f64_e32 v[20:21], s[22:23], v[12:13]
	v_add_f64 v[18:19], v[14:15], v[20:21]
	v_add_f64 v[12:13], v[18:19], -v[14:15]
	v_add_f64 v[20:21], v[20:21], -v[12:13]
	s_andn2_saveexec_b64 s[4:5], s[24:25]
	s_cbranch_execz .LBB5_84
	s_branch .LBB5_83
.LBB5_82:
	s_andn2_saveexec_b64 s[4:5], s[24:25]
	s_cbranch_execz .LBB5_84
.LBB5_83:
	s_mov_b32 s22, 0x6dc9c883
	s_mov_b32 s23, 0x3fe45f30
	v_mul_f64 v[12:13], |v[8:9]|, s[22:23]
	s_mov_b32 s22, 0x54442d18
	v_rndne_f64_e32 v[12:13], v[12:13]
	s_mov_b32 s23, 0xbff921fb
	v_fma_f64 v[14:15], v[12:13], s[22:23], |v[8:9]|
	s_mov_b32 s23, 0xbc91a626
	s_mov_b32 s22, 0x33145c00
	v_mul_f64 v[18:19], v[12:13], s[22:23]
	v_add_f64 v[30:31], v[14:15], v[18:19]
	v_fma_f64 v[20:21], s[22:23], v[12:13], v[14:15]
	s_mov_b32 s23, 0x3c91a626
	v_add_f64 v[14:15], v[14:15], -v[30:31]
	v_fma_f64 v[28:29], s[22:23], v[12:13], v[18:19]
	v_add_f64 v[14:15], v[14:15], v[18:19]
	v_add_f64 v[18:19], v[30:31], -v[20:21]
	v_add_f64 v[14:15], v[18:19], v[14:15]
	s_mov_b32 s22, 0x252049c0
	v_add_f64 v[14:15], v[14:15], -v[28:29]
	s_mov_b32 s23, 0xb97b839a
	v_fmac_f64_e32 v[14:15], s[22:23], v[12:13]
	v_add_f64 v[18:19], v[20:21], v[14:15]
	v_add_f64 v[20:21], v[18:19], -v[20:21]
	v_add_f64 v[20:21], v[14:15], -v[20:21]
	v_cvt_i32_f64_e32 v29, v[12:13]
.LBB5_84:
	s_or_b64 exec, exec, s[4:5]
                                        ; implicit-def: $vgpr28
                                        ; implicit-def: $vgpr12_vgpr13
                                        ; implicit-def: $vgpr14_vgpr15
	s_and_saveexec_b64 s[4:5], s[20:21]
	s_xor_b64 s[20:21], exec, s[4:5]
	s_cbranch_execz .LBB5_86
; %bb.85:
	s_mov_b32 s4, 0
	s_mov_b32 s5, 0x7b000000
	s_movk_i32 s22, 0xff80
	v_and_b32_e32 v14, 0x7fffffff, v9
	v_ldexp_f64 v[12:13], |v[8:9]|, s22
	v_cmp_ge_f64_e64 vcc, |v[8:9]|, s[4:5]
	v_cndmask_b32_e32 v13, v14, v13, vcc
	v_cndmask_b32_e32 v12, v8, v12, vcc
	v_mul_f64 v[30:31], v[26:27], v[12:13]
	v_mul_f64 v[14:15], v[24:25], v[12:13]
	v_fma_f64 v[26:27], v[26:27], v[12:13], -v[30:31]
	v_add_f64 v[32:33], v[14:15], v[26:27]
	v_add_f64 v[34:35], v[30:31], v[32:33]
	s_mov_b32 s4, 0
	v_ldexp_f64 v[36:37], v[34:35], -2
	s_mov_b32 s5, 0x7ff00000
	v_fract_f64_e32 v[38:39], v[36:37]
	v_cmp_neq_f64_e64 vcc, |v[36:37]|, s[4:5]
	v_cndmask_b32_e32 v37, 0, v39, vcc
	v_cndmask_b32_e32 v36, 0, v38, vcc
	v_add_f64 v[38:39], v[32:33], -v[14:15]
	v_add_f64 v[26:27], v[26:27], -v[38:39]
	;; [unrolled: 1-line block ×4, first 2 shown]
	v_fma_f64 v[14:15], v[24:25], v[12:13], -v[14:15]
	v_mul_f64 v[24:25], v[22:23], v[12:13]
	v_add_f64 v[26:27], v[26:27], v[38:39]
	v_add_f64 v[38:39], v[24:25], v[14:15]
	;; [unrolled: 1-line block ×3, first 2 shown]
	v_add_f64 v[30:31], v[34:35], -v[30:31]
	v_add_f64 v[34:35], v[42:43], -v[38:39]
	;; [unrolled: 1-line block ×5, first 2 shown]
	v_add_f64 v[26:27], v[26:27], v[34:35]
	v_add_f64 v[34:35], v[38:39], -v[24:25]
	v_add_f64 v[14:15], v[14:15], -v[34:35]
	;; [unrolled: 1-line block ×4, first 2 shown]
	v_add_f64 v[14:15], v[14:15], v[34:35]
	v_add_f64 v[30:31], v[32:33], -v[30:31]
	v_add_f64 v[14:15], v[14:15], v[26:27]
	v_fma_f64 v[12:13], v[22:23], v[12:13], -v[24:25]
	v_add_f64 v[32:33], v[30:31], v[42:43]
	v_add_f64 v[12:13], v[12:13], v[14:15]
	v_ldexp_f64 v[14:15], v[36:37], 2
	v_add_f64 v[22:23], v[32:33], v[14:15]
	v_mov_b32_e32 v24, 0x40100000
	v_cmp_gt_f64_e32 vcc, 0, v[22:23]
	v_mov_b32_e32 v40, 0
	v_cndmask_b32_e32 v41, 0, v24, vcc
	v_add_f64 v[14:15], v[14:15], v[40:41]
	v_add_f64 v[22:23], v[32:33], v[14:15]
	v_cvt_i32_f64_e32 v24, v[22:23]
	v_cvt_f64_i32_e32 v[22:23], v24
	v_add_f64 v[14:15], v[14:15], -v[22:23]
	v_add_f64 v[30:31], v[32:33], -v[30:31]
	v_add_f64 v[22:23], v[32:33], v[14:15]
	v_add_f64 v[30:31], v[42:43], -v[30:31]
	v_add_f64 v[14:15], v[22:23], -v[14:15]
	v_add_f64 v[12:13], v[30:31], v[12:13]
	v_add_f64 v[14:15], v[32:33], -v[14:15]
	v_add_f64 v[12:13], v[12:13], v[14:15]
	v_cmp_le_f64_e32 vcc, 0.5, v[22:23]
	v_mov_b32_e32 v14, 0x3ff00000
	v_cndmask_b32_e32 v41, 0, v14, vcc
	v_addc_co_u32_e64 v28, s[4:5], 0, v24, vcc
	v_add_f64 v[14:15], v[22:23], -v[40:41]
	v_add_f64 v[22:23], v[14:15], v[12:13]
	s_mov_b32 s4, 0x54442d18
	v_add_f64 v[14:15], v[22:23], -v[14:15]
	s_mov_b32 s5, 0x3ff921fb
	v_add_f64 v[12:13], v[12:13], -v[14:15]
	v_mul_f64 v[14:15], v[22:23], s[4:5]
	s_mov_b32 s22, 0x33145c07
	v_fma_f64 v[24:25], v[22:23], s[4:5], -v[14:15]
	s_mov_b32 s23, 0x3c91a626
	v_fmac_f64_e32 v[24:25], s[22:23], v[22:23]
	v_fmac_f64_e32 v[24:25], s[4:5], v[12:13]
	v_add_f64 v[12:13], v[14:15], v[24:25]
	v_add_f64 v[14:15], v[12:13], -v[14:15]
	v_add_f64 v[14:15], v[24:25], -v[14:15]
	s_andn2_saveexec_b64 s[4:5], s[20:21]
	s_cbranch_execnz .LBB5_87
	s_branch .LBB5_88
.LBB5_86:
	s_andn2_saveexec_b64 s[4:5], s[20:21]
	s_cbranch_execz .LBB5_88
.LBB5_87:
	s_mov_b32 s20, 0x6dc9c883
	s_mov_b32 s21, 0x3fe45f30
	v_mul_f64 v[12:13], |v[8:9]|, s[20:21]
	s_mov_b32 s20, 0x54442d18
	v_rndne_f64_e32 v[22:23], v[12:13]
	s_mov_b32 s21, 0xbff921fb
	v_fma_f64 v[12:13], v[22:23], s[20:21], |v[8:9]|
	s_mov_b32 s21, 0xbc91a626
	s_mov_b32 s20, 0x33145c00
	v_mul_f64 v[24:25], v[22:23], s[20:21]
	v_add_f64 v[30:31], v[12:13], v[24:25]
	v_fma_f64 v[14:15], s[20:21], v[22:23], v[12:13]
	s_mov_b32 s21, 0x3c91a626
	v_add_f64 v[12:13], v[12:13], -v[30:31]
	v_fma_f64 v[26:27], s[20:21], v[22:23], v[24:25]
	v_add_f64 v[12:13], v[12:13], v[24:25]
	v_add_f64 v[24:25], v[30:31], -v[14:15]
	v_add_f64 v[12:13], v[24:25], v[12:13]
	s_mov_b32 s20, 0x252049c0
	v_add_f64 v[24:25], v[12:13], -v[26:27]
	s_mov_b32 s21, 0xb97b839a
	v_fmac_f64_e32 v[24:25], s[20:21], v[22:23]
	v_add_f64 v[12:13], v[14:15], v[24:25]
	v_add_f64 v[14:15], v[12:13], -v[14:15]
	v_add_f64 v[14:15], v[24:25], -v[14:15]
	v_cvt_i32_f64_e32 v28, v[22:23]
.LBB5_88:
	s_or_b64 exec, exec, s[4:5]
	v_div_scale_f64 v[22:23], s[4:5], v[16:17], v[16:17], 1.0
	v_rcp_f64_e32 v[24:25], v[22:23]
	v_div_scale_f64 v[26:27], vcc, 1.0, v[16:17], 1.0
	v_mov_b32_e32 v32, 0xb99518a7
	v_fma_f64 v[30:31], -v[22:23], v[24:25], 1.0
	v_fmac_f64_e32 v[24:25], v[24:25], v[30:31]
	v_fma_f64 v[30:31], -v[22:23], v[24:25], 1.0
	v_fmac_f64_e32 v[24:25], v[24:25], v[30:31]
	v_mul_f64 v[30:31], v[26:27], v[24:25]
	v_fma_f64 v[22:23], -v[22:23], v[30:31], v[26:27]
	v_div_fmas_f64 v[22:23], v[22:23], v[24:25], v[30:31]
	v_div_fixup_f64 v[16:17], v[22:23], v[16:17], 1.0
	v_mul_f64 v[22:23], v[16:17], v[16:17]
	v_mov_b32_e32 v24, 0xd50ae6fb
	v_mov_b32_e32 v25, 0xbfc0db6c
	v_fmac_f64_e32 v[24:25], 0, v[22:23]
	v_mov_b32_e32 v26, 0x98566852
	v_mov_b32_e32 v27, 0xbfe40bee
	v_fmac_f64_e32 v[26:27], v[22:23], v[24:25]
	;; [unrolled: 3-line block ×16, first 2 shown]
	v_mov_b32_e32 v33, 0x3e9e52b9
	v_mul_f64 v[34:35], v[18:19], v[18:19]
	v_fmac_f64_e32 v[32:33], v[22:23], v[30:31]
	v_mov_b32_e32 v30, 0xf68ea2d2
	v_mov_b32_e32 v31, 0xbe52041c
	v_mul_f64 v[24:25], v[34:35], 0.5
	v_fmac_f64_e32 v[30:31], v[22:23], v[26:27]
	v_add_f64 v[26:27], -v[24:25], 1.0
	s_mov_b32 s4, 0x9037ab78
	v_add_f64 v[36:37], -v[26:27], 1.0
	s_mov_b32 s5, 0x3e21eeb6
	s_mov_b32 s20, 0x46cc5e42
	v_add_f64 v[36:37], v[36:37], -v[24:25]
	s_mov_b32 s21, 0xbda907db
	v_pk_mov_b32 v[24:25], s[4:5], s[4:5] op_sel:[0,1]
	s_mov_b32 s22, 0xa17f65f6
	v_fma_f64 v[40:41], s[20:21], v[34:35], v[24:25]
	s_mov_b32 s23, 0xbe927e4f
	s_mov_b32 s24, 0x19f4ec90
	v_fma_f64 v[40:41], v[34:35], v[40:41], s[22:23]
	s_mov_b32 s25, 0x3efa01a0
	;; [unrolled: 3-line block ×4, first 2 shown]
	v_mul_f64 v[38:39], v[34:35], v[34:35]
	v_fma_f64 v[40:41], v[34:35], v[40:41], s[28:29]
	v_fma_f64 v[36:37], v[18:19], -v[20:21], v[36:37]
	s_mov_b32 s4, 0xb42fdfa7
	v_fmac_f64_e32 v[36:37], v[38:39], v[40:41]
	s_mov_b32 s5, 0xbe5ae600
	s_mov_b32 s30, 0xf9a43bb8
	v_add_f64 v[36:37], v[26:27], v[36:37]
	s_mov_b32 s31, 0x3de5e0b2
	v_pk_mov_b32 v[26:27], s[4:5], s[4:5] op_sel:[0,1]
	s_mov_b32 s34, 0x796cde01
	v_fma_f64 v[38:39], s[30:31], v[34:35], v[26:27]
	s_mov_b32 s35, 0x3ec71de3
	s_mov_b32 s36, 0x19e83e5c
	v_fma_f64 v[38:39], v[34:35], v[38:39], s[34:35]
	s_mov_b32 s37, 0xbf2a01a0
	;; [unrolled: 3-line block ×3, first 2 shown]
	v_fma_f64 v[38:39], v[34:35], v[38:39], s[38:39]
	v_mul_f64 v[40:41], v[18:19], -v[34:35]
	v_mul_f64 v[42:43], v[20:21], 0.5
	v_fmac_f64_e32 v[42:43], v[40:41], v[38:39]
	v_fma_f64 v[20:21], v[34:35], v[42:43], -v[20:21]
	s_mov_b32 s41, 0xbfc55555
	s_mov_b32 s40, s28
	v_fmac_f64_e32 v[20:21], s[40:41], v[40:41]
	v_add_f64 v[18:19], v[18:19], -v[20:21]
	v_and_b32_e32 v20, 1, v29
	v_cmp_eq_u32_e32 vcc, 0, v20
	v_cndmask_b32_e32 v34, v36, v18, vcc
	v_cndmask_b32_e32 v18, v37, v19, vcc
	v_lshlrev_b32_e32 v19, 30, v29
	v_xor_b32_e32 v19, v19, v9
	v_and_b32_e32 v19, 0x80000000, v19
	v_xor_b32_e32 v29, v18, v19
	v_mul_f64 v[18:19], v[22:23], v[30:31]
	v_div_scale_f64 v[20:21], s[4:5], v[32:33], v[32:33], v[18:19]
	v_rcp_f64_e32 v[30:31], v[20:21]
	s_movk_i32 s33, 0x1f8
	v_cmp_class_f64_e64 s[4:5], v[8:9], s33
	v_cndmask_b32_e64 v8, 0, v34, s[4:5]
	v_fma_f64 v[34:35], -v[20:21], v[30:31], 1.0
	v_fmac_f64_e32 v[30:31], v[30:31], v[34:35]
	v_fma_f64 v[34:35], -v[20:21], v[30:31], 1.0
	v_fmac_f64_e32 v[30:31], v[30:31], v[34:35]
	v_div_scale_f64 v[34:35], vcc, v[18:19], v[32:33], v[18:19]
	v_mul_f64 v[36:37], v[34:35], v[30:31]
	v_fma_f64 v[20:21], -v[20:21], v[36:37], v[34:35]
	s_mov_b32 s42, 0
	s_nop 0
	v_div_fmas_f64 v[20:21], v[20:21], v[30:31], v[36:37]
	v_div_fixup_f64 v[18:19], v[20:21], v[32:33], v[18:19]
	v_mov_b32_e32 v20, 0xddcfbbde
	v_mov_b32_e32 v21, 0x3f943525
	v_fmac_f64_e32 v[20:21], 0, v[22:23]
	v_mov_b32_e32 v30, 0x6437b7
	v_mov_b32_e32 v31, 0x3fd907d5
	v_fmac_f64_e32 v[30:31], v[22:23], v[20:21]
	;; [unrolled: 3-line block ×14, first 2 shown]
	v_mov_b32_e32 v32, 0x2b79dbce
	v_mov_b32_e32 v33, 0x4015e84e
	s_brev_b32 s43, 8
	v_mov_b32_e32 v40, 0x7ff80000
	v_fmac_f64_e32 v[32:33], v[22:23], v[30:31]
	v_mov_b32_e32 v30, 0xc195ece3
	v_mov_b32_e32 v31, 0x3fee8992
	v_cmp_gt_f64_e32 vcc, s[42:43], v[6:7]
	v_cndmask_b32_e64 v9, v40, v29, s[4:5]
	v_fmac_f64_e32 v[30:31], v[22:23], v[32:33]
	v_mov_b32_e32 v32, 0xed64a9ee
	v_mov_b32_e32 v33, 0x3fb6221d
	v_cndmask_b32_e64 v29, 0, 1, vcc
	v_fmac_f64_e32 v[32:33], v[22:23], v[30:31]
	v_mov_b32_e32 v30, 0x6be393bb
	v_mov_b32_e32 v31, 0x3f70e704
	v_lshlrev_b32_e32 v29, 8, v29
	v_fmac_f64_e32 v[30:31], v[22:23], v[32:33]
	v_mov_b32_e32 v32, 0xd603a5a0
	v_mov_b32_e32 v33, 0x3f1a8b61
	v_ldexp_f64 v[6:7], v[6:7], v29
	v_fmac_f64_e32 v[32:33], v[22:23], v[30:31]
	v_rsq_f64_e32 v[30:31], v[6:7]
	v_mov_b32_e32 v34, 0xdb0724e8
	v_mov_b32_e32 v35, 0x3eb3a845
	v_fmac_f64_e32 v[34:35], v[22:23], v[32:33]
	v_mul_f64 v[32:33], v[6:7], v[30:31]
	v_mul_f64 v[30:31], v[30:31], 0.5
	v_fma_f64 v[36:37], -v[30:31], v[32:33], 0.5
	v_fmac_f64_e32 v[32:33], v[32:33], v[36:37]
	v_fma_f64 v[38:39], -v[32:33], v[32:33], v[6:7]
	v_fmac_f64_e32 v[30:31], v[30:31], v[36:37]
	v_fmac_f64_e32 v[32:33], v[38:39], v[30:31]
	v_fma_f64 v[36:37], -v[32:33], v[32:33], v[6:7]
	v_mov_b32_e32 v29, 0xffffff80
	v_fmac_f64_e32 v[32:33], v[36:37], v[30:31]
	v_cndmask_b32_e32 v29, 0, v29, vcc
	v_ldexp_f64 v[30:31], v[32:33], v29
	v_mov_b32_e32 v29, 0x260
	v_cmp_class_f64_e32 vcc, v[6:7], v29
	s_mov_b32 s42, 0x50429b6d
	v_cndmask_b32_e32 v7, v31, v7, vcc
	v_cndmask_b32_e32 v6, v30, v6, vcc
	s_mov_b32 s43, 0x3fe20dd7
	v_div_scale_f64 v[30:31], s[44:45], v[6:7], v[6:7], s[42:43]
	v_rcp_f64_e32 v[32:33], v[30:31]
	v_mov_b32_e32 v36, 0x3dd589d4
	v_mov_b32_e32 v37, 0x3e351fc7
	v_fmac_f64_e32 v[36:37], v[22:23], v[34:35]
	v_fma_f64 v[22:23], -v[30:31], v[32:33], 1.0
	v_fmac_f64_e32 v[32:33], v[32:33], v[22:23]
	v_fma_f64 v[22:23], -v[30:31], v[32:33], 1.0
	v_fmac_f64_e32 v[32:33], v[32:33], v[22:23]
	v_div_scale_f64 v[22:23], vcc, s[42:43], v[6:7], s[42:43]
	v_mul_f64 v[34:35], v[22:23], v[32:33]
	v_fma_f64 v[22:23], -v[30:31], v[34:35], v[22:23]
	v_add_f64 v[18:19], v[18:19], 1.0
	s_nop 0
	v_div_fmas_f64 v[22:23], v[22:23], v[32:33], v[34:35]
	v_div_fixup_f64 v[6:7], v[22:23], v[6:7], s[42:43]
	v_mul_f64 v[22:23], v[12:13], v[12:13]
	v_mul_f64 v[30:31], v[22:23], 0.5
	v_fmac_f64_e32 v[24:25], s[20:21], v[22:23]
	v_add_f64 v[32:33], -v[30:31], 1.0
	v_fma_f64 v[24:25], v[22:23], v[24:25], s[22:23]
	v_add_f64 v[34:35], -v[32:33], 1.0
	v_fma_f64 v[24:25], v[22:23], v[24:25], s[24:25]
	v_add_f64 v[30:31], v[34:35], -v[30:31]
	v_fma_f64 v[24:25], v[22:23], v[24:25], s[26:27]
	v_fmac_f64_e32 v[26:27], s[30:31], v[22:23]
	v_mul_f64 v[34:35], v[22:23], v[22:23]
	v_fma_f64 v[24:25], v[22:23], v[24:25], s[28:29]
	v_fma_f64 v[30:31], v[12:13], -v[14:15], v[30:31]
	v_fma_f64 v[26:27], v[22:23], v[26:27], s[34:35]
	v_fmac_f64_e32 v[30:31], v[34:35], v[24:25]
	v_fma_f64 v[26:27], v[22:23], v[26:27], s[36:37]
	v_add_f64 v[24:25], v[32:33], v[30:31]
	v_fma_f64 v[26:27], v[22:23], v[26:27], s[38:39]
	v_mul_f64 v[30:31], v[12:13], -v[22:23]
	v_mul_f64 v[32:33], v[14:15], 0.5
	v_fmac_f64_e32 v[32:33], v[30:31], v[26:27]
	v_fma_f64 v[14:15], v[22:23], v[32:33], -v[14:15]
	v_fmac_f64_e32 v[14:15], s[40:41], v[30:31]
	v_add_f64 v[12:13], v[12:13], -v[14:15]
	v_and_b32_e32 v14, 1, v28
	v_cmp_eq_u32_e32 vcc, 0, v14
	v_xor_b32_e32 v13, 0x80000000, v13
	v_cndmask_b32_e32 v22, v12, v24, vcc
	v_lshlrev_b32_e32 v12, 30, v28
	v_cndmask_b32_e32 v23, v13, v25, vcc
	v_and_b32_e32 v24, 0x80000000, v12
	v_mul_f64 v[12:13], v[16:17], v[20:21]
	v_div_scale_f64 v[14:15], s[20:21], v[36:37], v[36:37], v[12:13]
	v_rcp_f64_e32 v[16:17], v[14:15]
	v_xor_b32_e32 v21, v23, v24
	v_cndmask_b32_e64 v20, 0, v22, s[4:5]
	v_cndmask_b32_e64 v21, v40, v21, s[4:5]
	v_fma_f64 v[22:23], -v[14:15], v[16:17], 1.0
	v_fmac_f64_e32 v[16:17], v[16:17], v[22:23]
	v_fma_f64 v[22:23], -v[14:15], v[16:17], 1.0
	v_fmac_f64_e32 v[16:17], v[16:17], v[22:23]
	v_div_scale_f64 v[22:23], vcc, v[12:13], v[36:37], v[12:13]
	v_mul_f64 v[24:25], v[22:23], v[16:17]
	v_fma_f64 v[14:15], -v[14:15], v[24:25], v[22:23]
	s_nop 1
	v_div_fmas_f64 v[14:15], v[14:15], v[16:17], v[24:25]
	v_div_fixup_f64 v[12:13], v[14:15], v[36:37], v[12:13]
	v_mul_f64 v[12:13], v[12:13], v[20:21]
	v_fma_f64 v[8:9], v[18:19], v[8:9], -v[12:13]
	v_mul_f64 v[12:13], v[6:7], v[8:9]
.LBB5_89:
	s_or_b64 exec, exec, s[14:15]
.LBB5_90:
	s_or_b64 exec, exec, s[12:13]
.LBB5_91:
	s_or_b64 exec, exec, s[10:11]
	s_add_u32 s4, s16, s6
	s_addc_u32 s5, s17, s7
	v_mov_b32_e32 v6, s5
	v_add_co_u32_e32 v7, vcc, s4, v1
	v_addc_co_u32_e32 v6, vcc, 0, v6, vcc
	global_store_dwordx4 v1, v[2:5], s[4:5]
	s_nop 0
	v_add_co_u32_e32 v2, vcc, 0x1000, v7
	v_addc_co_u32_e32 v3, vcc, 0, v6, vcc
	global_store_dwordx4 v[2:3], v[10:13], off
.LBB5_92:
	s_endpgm
	.section	.rodata,"a",@progbits
	.p2align	6, 0x0
	.amdhsa_kernel _ZN2at6native29vectorized_elementwise_kernelILi2EZZZNS0_12_GLOBAL__N_119airy_ai_kernel_cudaERNS_18TensorIteratorBaseEENKUlvE_clEvENKUlvE_clEvEUldE_St5arrayIPcLm2EEEEviT0_T1_
		.amdhsa_group_segment_fixed_size 0
		.amdhsa_private_segment_fixed_size 8
		.amdhsa_kernarg_size 24
		.amdhsa_user_sgpr_count 8
		.amdhsa_user_sgpr_private_segment_buffer 1
		.amdhsa_user_sgpr_dispatch_ptr 0
		.amdhsa_user_sgpr_queue_ptr 0
		.amdhsa_user_sgpr_kernarg_segment_ptr 1
		.amdhsa_user_sgpr_dispatch_id 0
		.amdhsa_user_sgpr_flat_scratch_init 1
		.amdhsa_user_sgpr_kernarg_preload_length 0
		.amdhsa_user_sgpr_kernarg_preload_offset 0
		.amdhsa_user_sgpr_private_segment_size 0
		.amdhsa_uses_dynamic_stack 0
		.amdhsa_system_sgpr_private_segment_wavefront_offset 1
		.amdhsa_system_sgpr_workgroup_id_x 1
		.amdhsa_system_sgpr_workgroup_id_y 0
		.amdhsa_system_sgpr_workgroup_id_z 0
		.amdhsa_system_sgpr_workgroup_info 0
		.amdhsa_system_vgpr_workitem_id 0
		.amdhsa_next_free_vgpr 68
		.amdhsa_next_free_sgpr 48
		.amdhsa_accum_offset 68
		.amdhsa_reserve_vcc 1
		.amdhsa_reserve_flat_scratch 1
		.amdhsa_float_round_mode_32 0
		.amdhsa_float_round_mode_16_64 0
		.amdhsa_float_denorm_mode_32 3
		.amdhsa_float_denorm_mode_16_64 3
		.amdhsa_dx10_clamp 1
		.amdhsa_ieee_mode 1
		.amdhsa_fp16_overflow 0
		.amdhsa_tg_split 0
		.amdhsa_exception_fp_ieee_invalid_op 0
		.amdhsa_exception_fp_denorm_src 0
		.amdhsa_exception_fp_ieee_div_zero 0
		.amdhsa_exception_fp_ieee_overflow 0
		.amdhsa_exception_fp_ieee_underflow 0
		.amdhsa_exception_fp_ieee_inexact 0
		.amdhsa_exception_int_div_zero 0
	.end_amdhsa_kernel
	.section	.text._ZN2at6native29vectorized_elementwise_kernelILi2EZZZNS0_12_GLOBAL__N_119airy_ai_kernel_cudaERNS_18TensorIteratorBaseEENKUlvE_clEvENKUlvE_clEvEUldE_St5arrayIPcLm2EEEEviT0_T1_,"axG",@progbits,_ZN2at6native29vectorized_elementwise_kernelILi2EZZZNS0_12_GLOBAL__N_119airy_ai_kernel_cudaERNS_18TensorIteratorBaseEENKUlvE_clEvENKUlvE_clEvEUldE_St5arrayIPcLm2EEEEviT0_T1_,comdat
.Lfunc_end5:
	.size	_ZN2at6native29vectorized_elementwise_kernelILi2EZZZNS0_12_GLOBAL__N_119airy_ai_kernel_cudaERNS_18TensorIteratorBaseEENKUlvE_clEvENKUlvE_clEvEUldE_St5arrayIPcLm2EEEEviT0_T1_, .Lfunc_end5-_ZN2at6native29vectorized_elementwise_kernelILi2EZZZNS0_12_GLOBAL__N_119airy_ai_kernel_cudaERNS_18TensorIteratorBaseEENKUlvE_clEvENKUlvE_clEvEUldE_St5arrayIPcLm2EEEEviT0_T1_
                                        ; -- End function
	.section	.AMDGPU.csdata,"",@progbits
; Kernel info:
; codeLenInByte = 24280
; NumSgprs: 54
; NumVgprs: 68
; NumAgprs: 0
; TotalNumVgprs: 68
; ScratchSize: 8
; MemoryBound: 0
; FloatMode: 240
; IeeeMode: 1
; LDSByteSize: 0 bytes/workgroup (compile time only)
; SGPRBlocks: 6
; VGPRBlocks: 8
; NumSGPRsForWavesPerEU: 54
; NumVGPRsForWavesPerEU: 68
; AccumOffset: 68
; Occupancy: 7
; WaveLimiterHint : 1
; COMPUTE_PGM_RSRC2:SCRATCH_EN: 1
; COMPUTE_PGM_RSRC2:USER_SGPR: 8
; COMPUTE_PGM_RSRC2:TRAP_HANDLER: 0
; COMPUTE_PGM_RSRC2:TGID_X_EN: 1
; COMPUTE_PGM_RSRC2:TGID_Y_EN: 0
; COMPUTE_PGM_RSRC2:TGID_Z_EN: 0
; COMPUTE_PGM_RSRC2:TIDIG_COMP_CNT: 0
; COMPUTE_PGM_RSRC3_GFX90A:ACCUM_OFFSET: 16
; COMPUTE_PGM_RSRC3_GFX90A:TG_SPLIT: 0
	.section	.text._ZN2at6native27unrolled_elementwise_kernelIZZZNS0_12_GLOBAL__N_119airy_ai_kernel_cudaERNS_18TensorIteratorBaseEENKUlvE_clEvENKUlvE_clEvEUldE_St5arrayIPcLm2EELi4E23TrivialOffsetCalculatorILi1EjESC_NS0_6memory15LoadWithoutCastENSD_16StoreWithoutCastEEEviT_T0_T2_T3_T4_T5_,"axG",@progbits,_ZN2at6native27unrolled_elementwise_kernelIZZZNS0_12_GLOBAL__N_119airy_ai_kernel_cudaERNS_18TensorIteratorBaseEENKUlvE_clEvENKUlvE_clEvEUldE_St5arrayIPcLm2EELi4E23TrivialOffsetCalculatorILi1EjESC_NS0_6memory15LoadWithoutCastENSD_16StoreWithoutCastEEEviT_T0_T2_T3_T4_T5_,comdat
	.globl	_ZN2at6native27unrolled_elementwise_kernelIZZZNS0_12_GLOBAL__N_119airy_ai_kernel_cudaERNS_18TensorIteratorBaseEENKUlvE_clEvENKUlvE_clEvEUldE_St5arrayIPcLm2EELi4E23TrivialOffsetCalculatorILi1EjESC_NS0_6memory15LoadWithoutCastENSD_16StoreWithoutCastEEEviT_T0_T2_T3_T4_T5_ ; -- Begin function _ZN2at6native27unrolled_elementwise_kernelIZZZNS0_12_GLOBAL__N_119airy_ai_kernel_cudaERNS_18TensorIteratorBaseEENKUlvE_clEvENKUlvE_clEvEUldE_St5arrayIPcLm2EELi4E23TrivialOffsetCalculatorILi1EjESC_NS0_6memory15LoadWithoutCastENSD_16StoreWithoutCastEEEviT_T0_T2_T3_T4_T5_
	.p2align	8
	.type	_ZN2at6native27unrolled_elementwise_kernelIZZZNS0_12_GLOBAL__N_119airy_ai_kernel_cudaERNS_18TensorIteratorBaseEENKUlvE_clEvENKUlvE_clEvEUldE_St5arrayIPcLm2EELi4E23TrivialOffsetCalculatorILi1EjESC_NS0_6memory15LoadWithoutCastENSD_16StoreWithoutCastEEEviT_T0_T2_T3_T4_T5_,@function
_ZN2at6native27unrolled_elementwise_kernelIZZZNS0_12_GLOBAL__N_119airy_ai_kernel_cudaERNS_18TensorIteratorBaseEENKUlvE_clEvENKUlvE_clEvEUldE_St5arrayIPcLm2EELi4E23TrivialOffsetCalculatorILi1EjESC_NS0_6memory15LoadWithoutCastENSD_16StoreWithoutCastEEEviT_T0_T2_T3_T4_T5_: ; @_ZN2at6native27unrolled_elementwise_kernelIZZZNS0_12_GLOBAL__N_119airy_ai_kernel_cudaERNS_18TensorIteratorBaseEENKUlvE_clEvENKUlvE_clEvEUldE_St5arrayIPcLm2EELi4E23TrivialOffsetCalculatorILi1EjESC_NS0_6memory15LoadWithoutCastENSD_16StoreWithoutCastEEEviT_T0_T2_T3_T4_T5_
; %bb.0:
	s_add_u32 flat_scratch_lo, s6, s9
	s_load_dword s6, s[4:5], 0x0
	s_load_dwordx4 s[16:19], s[4:5], 0x8
	s_addc_u32 flat_scratch_hi, s7, 0
	s_add_u32 s0, s0, s9
	s_addc_u32 s1, s1, 0
	s_lshl_b32 s4, s8, 10
	s_waitcnt lgkmcnt(0)
	s_sub_i32 s6, s6, s4
	s_mov_b32 s12, s8
	v_mov_b32_e32 v31, v0
	v_mov_b32_e32 v0, s16
	;; [unrolled: 1-line block ×6, first 2 shown]
	s_mov_b32 s32, 0
	s_getpc_b64 s[4:5]
	s_add_u32 s4, s4, _ZN2at6native25elementwise_kernel_helperILb0EZZZNS0_12_GLOBAL__N_119airy_ai_kernel_cudaERNS_18TensorIteratorBaseEENKUlvE_clEvENKUlvE_clEvEUldE_NS0_6memory8policies11unroll_baseILi256ESt5arrayIPcLm2EE23TrivialOffsetCalculatorILi1EjESF_NS8_15LoadWithoutCastENS8_16StoreWithoutCastELi4ELi1EEEEEvT0_T1_@rel32@lo+4
	s_addc_u32 s5, s5, _ZN2at6native25elementwise_kernel_helperILb0EZZZNS0_12_GLOBAL__N_119airy_ai_kernel_cudaERNS_18TensorIteratorBaseEENKUlvE_clEvENKUlvE_clEvEUldE_NS0_6memory8policies11unroll_baseILi256ESt5arrayIPcLm2EE23TrivialOffsetCalculatorILi1EjESF_NS8_15LoadWithoutCastENS8_16StoreWithoutCastELi4ELi1EEEEEvT0_T1_@rel32@hi+12
	s_swappc_b64 s[30:31], s[4:5]
	s_endpgm
	.section	.rodata,"a",@progbits
	.p2align	6, 0x0
	.amdhsa_kernel _ZN2at6native27unrolled_elementwise_kernelIZZZNS0_12_GLOBAL__N_119airy_ai_kernel_cudaERNS_18TensorIteratorBaseEENKUlvE_clEvENKUlvE_clEvEUldE_St5arrayIPcLm2EELi4E23TrivialOffsetCalculatorILi1EjESC_NS0_6memory15LoadWithoutCastENSD_16StoreWithoutCastEEEviT_T0_T2_T3_T4_T5_
		.amdhsa_group_segment_fixed_size 0
		.amdhsa_private_segment_fixed_size 8
		.amdhsa_kernarg_size 28
		.amdhsa_user_sgpr_count 8
		.amdhsa_user_sgpr_private_segment_buffer 1
		.amdhsa_user_sgpr_dispatch_ptr 0
		.amdhsa_user_sgpr_queue_ptr 0
		.amdhsa_user_sgpr_kernarg_segment_ptr 1
		.amdhsa_user_sgpr_dispatch_id 0
		.amdhsa_user_sgpr_flat_scratch_init 1
		.amdhsa_user_sgpr_kernarg_preload_length 0
		.amdhsa_user_sgpr_kernarg_preload_offset 0
		.amdhsa_user_sgpr_private_segment_size 0
		.amdhsa_uses_dynamic_stack 0
		.amdhsa_system_sgpr_private_segment_wavefront_offset 1
		.amdhsa_system_sgpr_workgroup_id_x 1
		.amdhsa_system_sgpr_workgroup_id_y 0
		.amdhsa_system_sgpr_workgroup_id_z 0
		.amdhsa_system_sgpr_workgroup_info 0
		.amdhsa_system_vgpr_workitem_id 0
		.amdhsa_next_free_vgpr 68
		.amdhsa_next_free_sgpr 42
		.amdhsa_accum_offset 68
		.amdhsa_reserve_vcc 1
		.amdhsa_reserve_flat_scratch 1
		.amdhsa_float_round_mode_32 0
		.amdhsa_float_round_mode_16_64 0
		.amdhsa_float_denorm_mode_32 3
		.amdhsa_float_denorm_mode_16_64 3
		.amdhsa_dx10_clamp 1
		.amdhsa_ieee_mode 1
		.amdhsa_fp16_overflow 0
		.amdhsa_tg_split 0
		.amdhsa_exception_fp_ieee_invalid_op 0
		.amdhsa_exception_fp_denorm_src 0
		.amdhsa_exception_fp_ieee_div_zero 0
		.amdhsa_exception_fp_ieee_overflow 0
		.amdhsa_exception_fp_ieee_underflow 0
		.amdhsa_exception_fp_ieee_inexact 0
		.amdhsa_exception_int_div_zero 0
	.end_amdhsa_kernel
	.section	.text._ZN2at6native27unrolled_elementwise_kernelIZZZNS0_12_GLOBAL__N_119airy_ai_kernel_cudaERNS_18TensorIteratorBaseEENKUlvE_clEvENKUlvE_clEvEUldE_St5arrayIPcLm2EELi4E23TrivialOffsetCalculatorILi1EjESC_NS0_6memory15LoadWithoutCastENSD_16StoreWithoutCastEEEviT_T0_T2_T3_T4_T5_,"axG",@progbits,_ZN2at6native27unrolled_elementwise_kernelIZZZNS0_12_GLOBAL__N_119airy_ai_kernel_cudaERNS_18TensorIteratorBaseEENKUlvE_clEvENKUlvE_clEvEUldE_St5arrayIPcLm2EELi4E23TrivialOffsetCalculatorILi1EjESC_NS0_6memory15LoadWithoutCastENSD_16StoreWithoutCastEEEviT_T0_T2_T3_T4_T5_,comdat
.Lfunc_end6:
	.size	_ZN2at6native27unrolled_elementwise_kernelIZZZNS0_12_GLOBAL__N_119airy_ai_kernel_cudaERNS_18TensorIteratorBaseEENKUlvE_clEvENKUlvE_clEvEUldE_St5arrayIPcLm2EELi4E23TrivialOffsetCalculatorILi1EjESC_NS0_6memory15LoadWithoutCastENSD_16StoreWithoutCastEEEviT_T0_T2_T3_T4_T5_, .Lfunc_end6-_ZN2at6native27unrolled_elementwise_kernelIZZZNS0_12_GLOBAL__N_119airy_ai_kernel_cudaERNS_18TensorIteratorBaseEENKUlvE_clEvENKUlvE_clEvEUldE_St5arrayIPcLm2EELi4E23TrivialOffsetCalculatorILi1EjESC_NS0_6memory15LoadWithoutCastENSD_16StoreWithoutCastEEEviT_T0_T2_T3_T4_T5_
                                        ; -- End function
	.section	.AMDGPU.csdata,"",@progbits
; Kernel info:
; codeLenInByte = 104
; NumSgprs: 48
; NumVgprs: 68
; NumAgprs: 0
; TotalNumVgprs: 68
; ScratchSize: 8
; MemoryBound: 0
; FloatMode: 240
; IeeeMode: 1
; LDSByteSize: 0 bytes/workgroup (compile time only)
; SGPRBlocks: 5
; VGPRBlocks: 8
; NumSGPRsForWavesPerEU: 48
; NumVGPRsForWavesPerEU: 68
; AccumOffset: 68
; Occupancy: 7
; WaveLimiterHint : 0
; COMPUTE_PGM_RSRC2:SCRATCH_EN: 1
; COMPUTE_PGM_RSRC2:USER_SGPR: 8
; COMPUTE_PGM_RSRC2:TRAP_HANDLER: 0
; COMPUTE_PGM_RSRC2:TGID_X_EN: 1
; COMPUTE_PGM_RSRC2:TGID_Y_EN: 0
; COMPUTE_PGM_RSRC2:TGID_Z_EN: 0
; COMPUTE_PGM_RSRC2:TIDIG_COMP_CNT: 0
; COMPUTE_PGM_RSRC3_GFX90A:ACCUM_OFFSET: 16
; COMPUTE_PGM_RSRC3_GFX90A:TG_SPLIT: 0
	.section	.text._ZN2at6native32elementwise_kernel_manual_unrollILi128ELi4EZNS0_22gpu_kernel_impl_nocastIZZZNS0_12_GLOBAL__N_119airy_ai_kernel_cudaERNS_18TensorIteratorBaseEENKUlvE_clEvENKUlvE_clEvEUldE_EEvS5_RKT_EUlibE_EEviT1_,"axG",@progbits,_ZN2at6native32elementwise_kernel_manual_unrollILi128ELi4EZNS0_22gpu_kernel_impl_nocastIZZZNS0_12_GLOBAL__N_119airy_ai_kernel_cudaERNS_18TensorIteratorBaseEENKUlvE_clEvENKUlvE_clEvEUldE_EEvS5_RKT_EUlibE_EEviT1_,comdat
	.globl	_ZN2at6native32elementwise_kernel_manual_unrollILi128ELi4EZNS0_22gpu_kernel_impl_nocastIZZZNS0_12_GLOBAL__N_119airy_ai_kernel_cudaERNS_18TensorIteratorBaseEENKUlvE_clEvENKUlvE_clEvEUldE_EEvS5_RKT_EUlibE_EEviT1_ ; -- Begin function _ZN2at6native32elementwise_kernel_manual_unrollILi128ELi4EZNS0_22gpu_kernel_impl_nocastIZZZNS0_12_GLOBAL__N_119airy_ai_kernel_cudaERNS_18TensorIteratorBaseEENKUlvE_clEvENKUlvE_clEvEUldE_EEvS5_RKT_EUlibE_EEviT1_
	.p2align	8
	.type	_ZN2at6native32elementwise_kernel_manual_unrollILi128ELi4EZNS0_22gpu_kernel_impl_nocastIZZZNS0_12_GLOBAL__N_119airy_ai_kernel_cudaERNS_18TensorIteratorBaseEENKUlvE_clEvENKUlvE_clEvEUldE_EEvS5_RKT_EUlibE_EEviT1_,@function
_ZN2at6native32elementwise_kernel_manual_unrollILi128ELi4EZNS0_22gpu_kernel_impl_nocastIZZZNS0_12_GLOBAL__N_119airy_ai_kernel_cudaERNS_18TensorIteratorBaseEENKUlvE_clEvENKUlvE_clEvEUldE_EEvS5_RKT_EUlibE_EEviT1_: ; @_ZN2at6native32elementwise_kernel_manual_unrollILi128ELi4EZNS0_22gpu_kernel_impl_nocastIZZZNS0_12_GLOBAL__N_119airy_ai_kernel_cudaERNS_18TensorIteratorBaseEENKUlvE_clEvENKUlvE_clEvEUldE_EEvS5_RKT_EUlibE_EEviT1_
; %bb.0:
	s_load_dword s59, s[4:5], 0x0
	s_load_dword s33, s[4:5], 0x8
	s_or_b32 s4, s4, 8
	v_lshl_or_b32 v24, s6, 9, v0
	v_or_b32_e32 v10, 0x180, v24
	s_waitcnt lgkmcnt(0)
	v_cmp_le_i32_e32 vcc, s59, v10
	s_add_i32 s58, s33, -1
	s_cmp_gt_u32 s58, 1
	s_cselect_b64 s[6:7], -1, 0
	s_and_saveexec_b64 s[0:1], vcc
	s_xor_b64 s[34:35], exec, s[0:1]
	s_cbranch_execz .LBB7_8
; %bb.1:
	s_load_dwordx4 s[36:39], s[4:5], 0x4
	s_load_dwordx2 s[40:41], s[4:5], 0x14
	s_load_dwordx4 s[28:31], s[4:5], 0xc4
	s_load_dwordx4 s[24:27], s[4:5], 0x148
	s_cmp_lg_u32 s33, 0
	s_cselect_b64 s[46:47], -1, 0
	s_add_u32 s44, s4, 0xc4
	s_addc_u32 s45, s5, 0
	s_min_u32 s60, s58, 15
	s_cmp_gt_u32 s33, 1
	s_cselect_b64 s[42:43], -1, 0
	v_cmp_gt_i32_e32 vcc, s59, v24
	s_and_saveexec_b64 s[48:49], vcc
	s_cbranch_execz .LBB7_16
; %bb.2:
	s_andn2_b64 vcc, exec, s[6:7]
	s_cbranch_vccnz .LBB7_24
; %bb.3:
	s_mov_b32 s50, 0
	s_andn2_b64 vcc, exec, s[46:47]
	v_mov_b32_e32 v2, 0
	v_mov_b32_e32 v0, 0
	s_cbranch_vccnz .LBB7_168
; %bb.4:
	s_add_i32 s56, s60, 1
	s_cmp_eq_u32 s58, 2
	s_cbranch_scc1 .LBB7_163
; %bb.5:
	s_and_b32 s50, s56, 28
	s_mov_b32 s51, 0
	v_mov_b32_e32 v0, 0
	s_mov_b64 s[52:53], s[4:5]
	s_mov_b64 s[54:55], s[44:45]
	v_mov_b32_e32 v3, v24
	v_mov_b32_e32 v2, 0
.LBB7_6:                                ; =>This Inner Loop Header: Depth=1
	s_load_dwordx8 s[16:23], s[52:53], 0x4
	s_load_dwordx4 s[0:3], s[52:53], 0x24
	s_load_dwordx8 s[8:15], s[54:55], 0x0
	s_add_u32 s52, s52, 48
	s_addc_u32 s53, s53, 0
	s_waitcnt lgkmcnt(0)
	v_mul_hi_u32 v1, s17, v3
	v_add_u32_e32 v1, v3, v1
	v_lshrrev_b32_e32 v1, s18, v1
	v_mul_lo_u32 v4, v1, s16
	v_mul_hi_u32 v5, s20, v1
	v_sub_u32_e32 v3, v3, v4
	v_add_u32_e32 v4, v1, v5
	v_lshrrev_b32_e32 v4, s21, v4
	v_mul_lo_u32 v6, v4, s19
	v_mul_hi_u32 v7, s23, v4
	v_sub_u32_e32 v1, v1, v6
	v_add_u32_e32 v6, v4, v7
	v_mul_lo_u32 v5, v3, s9
	v_mul_lo_u32 v3, v3, s8
	;; [unrolled: 1-line block ×4, first 2 shown]
	v_lshrrev_b32_e32 v6, s0, v6
	v_add3_u32 v0, v3, v0, v1
	v_mul_hi_u32 v3, s2, v6
	v_add_u32_e32 v3, v6, v3
	v_lshrrev_b32_e32 v3, s3, v3
	s_add_i32 s51, s51, 4
	v_add3_u32 v1, v5, v2, v7
	v_mul_lo_u32 v2, v6, s22
	v_mul_lo_u32 v5, v3, s1
	s_add_u32 s54, s54, 32
	v_sub_u32_e32 v2, v4, v2
	v_sub_u32_e32 v5, v6, v5
	s_addc_u32 s55, s55, 0
	v_mul_lo_u32 v4, v2, s12
	v_mul_lo_u32 v2, v2, s13
	;; [unrolled: 1-line block ×4, first 2 shown]
	s_cmp_lg_u32 s50, s51
	v_add3_u32 v2, v2, v1, v5
	v_add3_u32 v0, v4, v0, v6
	s_cbranch_scc1 .LBB7_6
; %bb.7:
	v_mov_b32_e32 v1, v2
	s_branch .LBB7_164
.LBB7_8:
	s_andn2_saveexec_b64 s[0:1], s[34:35]
	s_cbranch_execz .LBB7_256
.LBB7_9:
	v_cndmask_b32_e64 v0, 0, 1, s[6:7]
	v_cmp_ne_u32_e64 s[0:1], 1, v0
	s_andn2_b64 vcc, exec, s[6:7]
	s_cbranch_vccnz .LBB7_23
; %bb.10:
	s_mov_b32 s2, 0
	s_cmp_lg_u32 s33, 0
	v_mov_b32_e32 v8, 0
	v_mov_b32_e32 v0, 0
	s_cbranch_scc0 .LBB7_15
; %bb.11:
	s_waitcnt lgkmcnt(0)
	s_min_u32 s30, s58, 15
	s_add_i32 s30, s30, 1
	s_cmp_eq_u32 s58, 2
	s_cbranch_scc1 .LBB7_26
; %bb.12:
	s_add_u32 s6, s4, 0xc4
	s_addc_u32 s7, s5, 0
	s_and_b32 s2, s30, 28
	s_mov_b32 s3, 0
	v_mov_b32_e32 v0, 0
	s_mov_b64 s[28:29], s[4:5]
	v_mov_b32_e32 v2, v24
	v_mov_b32_e32 v8, 0
.LBB7_13:                               ; =>This Inner Loop Header: Depth=1
	s_load_dwordx8 s[16:23], s[28:29], 0x4
	s_load_dwordx4 s[24:27], s[28:29], 0x24
	s_load_dwordx8 s[8:15], s[6:7], 0x0
	s_add_u32 s28, s28, 48
	s_addc_u32 s29, s29, 0
	s_waitcnt lgkmcnt(0)
	v_mul_hi_u32 v1, s17, v2
	v_add_u32_e32 v1, v2, v1
	v_lshrrev_b32_e32 v1, s18, v1
	v_mul_lo_u32 v3, v1, s16
	v_mul_hi_u32 v4, s20, v1
	v_sub_u32_e32 v2, v2, v3
	v_add_u32_e32 v3, v1, v4
	v_lshrrev_b32_e32 v3, s21, v3
	v_mul_lo_u32 v5, v3, s19
	v_mul_hi_u32 v6, s23, v3
	v_sub_u32_e32 v1, v1, v5
	v_add_u32_e32 v5, v3, v6
	v_mul_lo_u32 v4, v2, s9
	v_mul_lo_u32 v2, v2, s8
	;; [unrolled: 1-line block ×4, first 2 shown]
	v_lshrrev_b32_e32 v5, s24, v5
	v_add3_u32 v0, v2, v0, v1
	v_add3_u32 v1, v4, v8, v6
	v_mul_lo_u32 v2, v5, s22
	v_mul_hi_u32 v4, s26, v5
	v_sub_u32_e32 v2, v3, v2
	v_add_u32_e32 v3, v5, v4
	v_mul_lo_u32 v4, v2, s12
	v_mul_lo_u32 v6, v2, s13
	v_lshrrev_b32_e32 v2, s27, v3
	s_add_i32 s3, s3, 4
	v_mul_lo_u32 v3, v2, s25
	s_add_u32 s6, s6, 32
	v_sub_u32_e32 v3, v5, v3
	s_addc_u32 s7, s7, 0
	v_mul_lo_u32 v5, v3, s14
	v_mul_lo_u32 v3, v3, s15
	s_cmp_lg_u32 s2, s3
	v_add3_u32 v8, v6, v1, v3
	v_add3_u32 v0, v4, v0, v5
	s_cbranch_scc1 .LBB7_13
; %bb.14:
	v_mov_b32_e32 v1, v8
	s_and_b32 s8, s30, 3
	s_cmp_eq_u32 s8, 0
	s_cbranch_scc0 .LBB7_27
.LBB7_15:
	s_cbranch_execz .LBB7_30
	s_branch .LBB7_32
.LBB7_16:
	s_or_b64 exec, exec, s[48:49]
	v_cmp_gt_i32_e32 vcc, s59, v24
	s_and_saveexec_b64 s[48:49], vcc
	s_cbranch_execz .LBB7_219
.LBB7_17:
	s_andn2_b64 vcc, exec, s[6:7]
	s_cbranch_vccnz .LBB7_25
; %bb.18:
	s_mov_b32 s50, 0
	s_andn2_b64 vcc, exec, s[46:47]
	v_mov_b32_e32 v2, 0
	v_mov_b32_e32 v0, 0
	s_cbranch_vccnz .LBB7_189
; %bb.19:
	s_add_i32 s56, s60, 1
	s_cmp_eq_u32 s58, 2
	s_cbranch_scc1 .LBB7_184
; %bb.20:
	s_and_b32 s50, s56, 28
	s_mov_b32 s51, 0
	v_mov_b32_e32 v0, 0
	s_mov_b64 s[52:53], s[4:5]
	s_mov_b64 s[54:55], s[44:45]
	v_mov_b32_e32 v3, v24
	v_mov_b32_e32 v2, 0
.LBB7_21:                               ; =>This Inner Loop Header: Depth=1
	s_load_dwordx8 s[16:23], s[52:53], 0x4
	s_load_dwordx4 s[0:3], s[52:53], 0x24
	s_load_dwordx8 s[8:15], s[54:55], 0x0
	s_add_u32 s52, s52, 48
	s_addc_u32 s53, s53, 0
	s_waitcnt lgkmcnt(0)
	v_mul_hi_u32 v1, s17, v3
	v_add_u32_e32 v1, v3, v1
	v_lshrrev_b32_e32 v1, s18, v1
	v_mul_lo_u32 v4, v1, s16
	v_mul_hi_u32 v5, s20, v1
	v_sub_u32_e32 v3, v3, v4
	v_add_u32_e32 v4, v1, v5
	v_lshrrev_b32_e32 v4, s21, v4
	v_mul_lo_u32 v6, v4, s19
	v_mul_hi_u32 v7, s23, v4
	v_sub_u32_e32 v1, v1, v6
	v_add_u32_e32 v6, v4, v7
	v_mul_lo_u32 v5, v3, s9
	v_mul_lo_u32 v3, v3, s8
	;; [unrolled: 1-line block ×4, first 2 shown]
	v_lshrrev_b32_e32 v6, s0, v6
	v_add3_u32 v0, v3, v0, v1
	v_mul_hi_u32 v3, s2, v6
	v_add_u32_e32 v3, v6, v3
	v_lshrrev_b32_e32 v3, s3, v3
	s_add_i32 s51, s51, 4
	v_add3_u32 v1, v5, v2, v7
	v_mul_lo_u32 v2, v6, s22
	v_mul_lo_u32 v5, v3, s1
	s_add_u32 s54, s54, 32
	v_sub_u32_e32 v2, v4, v2
	v_sub_u32_e32 v5, v6, v5
	s_addc_u32 s55, s55, 0
	v_mul_lo_u32 v4, v2, s12
	v_mul_lo_u32 v2, v2, s13
	v_mul_lo_u32 v6, v5, s14
	v_mul_lo_u32 v5, v5, s15
	s_cmp_eq_u32 s50, s51
	v_add3_u32 v2, v2, v1, v5
	v_add3_u32 v0, v4, v0, v6
	s_cbranch_scc0 .LBB7_21
; %bb.22:
	v_mov_b32_e32 v1, v2
	s_branch .LBB7_185
.LBB7_23:
                                        ; implicit-def: $vgpr8
                                        ; implicit-def: $vgpr0
	s_branch .LBB7_30
.LBB7_24:
                                        ; implicit-def: $vgpr2
                                        ; implicit-def: $vgpr0
	s_branch .LBB7_169
.LBB7_25:
                                        ; implicit-def: $vgpr2
                                        ; implicit-def: $vgpr0
	s_branch .LBB7_190
.LBB7_26:
	s_mov_b32 s3, s2
	v_pk_mov_b32 v[0:1], s[2:3], s[2:3] op_sel:[0,1]
                                        ; implicit-def: $vgpr8
	v_mov_b32_e32 v2, v24
	s_and_b32 s8, s30, 3
	s_cmp_eq_u32 s8, 0
	s_cbranch_scc1 .LBB7_15
.LBB7_27:
	s_lshl_b32 s3, s2, 3
	s_add_u32 s3, s3, s4
	s_addc_u32 s7, 0, s5
	s_add_u32 s6, s3, 0xc4
	s_addc_u32 s7, s7, 0
	s_mul_i32 s2, s2, 12
	s_add_u32 s2, s4, s2
	s_addc_u32 s3, 0, s5
.LBB7_28:                               ; =>This Inner Loop Header: Depth=1
	s_load_dwordx2 s[10:11], s[2:3], 0x4
	s_load_dword s9, s[2:3], 0xc
	s_load_dwordx2 s[12:13], s[6:7], 0x0
	v_mov_b32_e32 v4, v1
	s_add_u32 s2, s2, 12
	s_waitcnt lgkmcnt(0)
	v_mul_hi_u32 v1, s11, v2
	v_add_u32_e32 v1, v2, v1
	v_lshrrev_b32_e32 v1, s9, v1
	s_addc_u32 s3, s3, 0
	v_mul_lo_u32 v3, v1, s10
	s_add_u32 s6, s6, 8
	v_sub_u32_e32 v3, v2, v3
	s_addc_u32 s7, s7, 0
	s_add_i32 s8, s8, -1
	v_mov_b32_e32 v2, v1
	v_mad_u64_u32 v[4:5], s[10:11], v3, s13, v[4:5]
	v_mad_u64_u32 v[0:1], s[10:11], v3, s12, v[0:1]
	s_cmp_lg_u32 s8, 0
	v_mov_b32_e32 v1, v4
	s_cbranch_scc1 .LBB7_28
; %bb.29:
	v_mov_b32_e32 v8, v1
	s_cbranch_execnz .LBB7_32
.LBB7_30:
	s_load_dwordx4 s[8:11], s[4:5], 0x4
	s_load_dwordx2 s[2:3], s[4:5], 0xc4
	s_cmp_lt_u32 s33, 2
	s_waitcnt lgkmcnt(0)
	v_mul_hi_u32 v0, s9, v24
	v_add_u32_e32 v0, v24, v0
	v_lshrrev_b32_e32 v1, s10, v0
	v_mul_lo_u32 v0, v1, s8
	v_sub_u32_e32 v0, v24, v0
	v_mul_lo_u32 v8, v0, s3
	v_mul_lo_u32 v0, v0, s2
	s_cbranch_scc1 .LBB7_32
; %bb.31:
	s_load_dwordx4 s[8:11], s[4:5], 0x10
	s_load_dwordx2 s[2:3], s[4:5], 0xcc
	s_waitcnt lgkmcnt(0)
	v_mul_hi_u32 v2, s9, v1
	v_add_u32_e32 v2, v1, v2
	v_lshrrev_b32_e32 v2, s10, v2
	v_mul_lo_u32 v2, v2, s8
	v_sub_u32_e32 v2, v1, v2
	v_mad_u64_u32 v[0:1], s[6:7], v2, s2, v[0:1]
	v_mad_u64_u32 v[8:9], s[2:3], v2, s3, v[8:9]
.LBB7_32:
	s_and_b64 vcc, exec, s[0:1]
	v_add_u32_e32 v1, 0x80, v24
	s_cbranch_vccnz .LBB7_39
; %bb.33:
	s_mov_b32 s2, 0
	s_cmp_lg_u32 s33, 0
	v_mov_b32_e32 v16, 0
	v_mov_b32_e32 v2, 0
	s_cbranch_scc0 .LBB7_38
; %bb.34:
	s_waitcnt lgkmcnt(0)
	s_min_u32 s30, s58, 15
	s_add_i32 s30, s30, 1
	s_cmp_eq_u32 s58, 2
	s_cbranch_scc1 .LBB7_40
; %bb.35:
	s_add_u32 s6, s4, 0xc4
	s_addc_u32 s7, s5, 0
	s_and_b32 s2, s30, 28
	s_mov_b32 s3, 0
	v_mov_b32_e32 v2, 0
	s_mov_b64 s[28:29], s[4:5]
	v_mov_b32_e32 v4, v1
	v_mov_b32_e32 v16, 0
.LBB7_36:                               ; =>This Inner Loop Header: Depth=1
	s_load_dwordx8 s[16:23], s[28:29], 0x4
	s_load_dwordx4 s[24:27], s[28:29], 0x24
	s_load_dwordx8 s[8:15], s[6:7], 0x0
	s_add_u32 s28, s28, 48
	s_addc_u32 s29, s29, 0
	s_waitcnt lgkmcnt(0)
	v_mul_hi_u32 v3, s17, v4
	v_add_u32_e32 v3, v4, v3
	v_lshrrev_b32_e32 v3, s18, v3
	v_mul_lo_u32 v5, v3, s16
	v_mul_hi_u32 v6, s20, v3
	v_sub_u32_e32 v4, v4, v5
	v_add_u32_e32 v5, v3, v6
	v_lshrrev_b32_e32 v5, s21, v5
	v_mul_lo_u32 v7, v5, s19
	v_mul_hi_u32 v9, s23, v5
	v_sub_u32_e32 v3, v3, v7
	v_add_u32_e32 v7, v5, v9
	v_mul_lo_u32 v6, v4, s9
	v_mul_lo_u32 v4, v4, s8
	;; [unrolled: 1-line block ×4, first 2 shown]
	v_lshrrev_b32_e32 v7, s24, v7
	v_add3_u32 v2, v4, v2, v3
	v_add3_u32 v3, v6, v16, v9
	v_mul_lo_u32 v4, v7, s22
	v_mul_hi_u32 v6, s26, v7
	v_sub_u32_e32 v4, v5, v4
	v_add_u32_e32 v5, v7, v6
	v_mul_lo_u32 v6, v4, s12
	v_mul_lo_u32 v9, v4, s13
	v_lshrrev_b32_e32 v4, s27, v5
	s_add_i32 s3, s3, 4
	v_mul_lo_u32 v5, v4, s25
	s_add_u32 s6, s6, 32
	v_sub_u32_e32 v5, v7, v5
	s_addc_u32 s7, s7, 0
	v_mul_lo_u32 v7, v5, s14
	v_mul_lo_u32 v5, v5, s15
	s_cmp_lg_u32 s2, s3
	v_add3_u32 v16, v9, v3, v5
	v_add3_u32 v2, v6, v2, v7
	s_cbranch_scc1 .LBB7_36
; %bb.37:
	v_mov_b32_e32 v3, v16
	s_and_b32 s8, s30, 3
	s_cmp_eq_u32 s8, 0
	s_cbranch_scc0 .LBB7_41
.LBB7_38:
	s_cbranch_execz .LBB7_44
	s_branch .LBB7_46
.LBB7_39:
                                        ; implicit-def: $vgpr16
                                        ; implicit-def: $vgpr2
	s_branch .LBB7_44
.LBB7_40:
	s_mov_b32 s3, s2
	v_pk_mov_b32 v[2:3], s[2:3], s[2:3] op_sel:[0,1]
                                        ; implicit-def: $vgpr16
	v_mov_b32_e32 v4, v1
	s_and_b32 s8, s30, 3
	s_cmp_eq_u32 s8, 0
	s_cbranch_scc1 .LBB7_38
.LBB7_41:
	s_lshl_b32 s3, s2, 3
	s_add_u32 s3, s3, s4
	s_addc_u32 s7, 0, s5
	s_add_u32 s6, s3, 0xc4
	s_addc_u32 s7, s7, 0
	s_mul_i32 s2, s2, 12
	s_add_u32 s2, s4, s2
	s_addc_u32 s3, 0, s5
.LBB7_42:                               ; =>This Inner Loop Header: Depth=1
	s_load_dwordx2 s[10:11], s[2:3], 0x4
	s_load_dword s9, s[2:3], 0xc
	s_load_dwordx2 s[12:13], s[6:7], 0x0
	v_mov_b32_e32 v6, v3
	s_add_u32 s2, s2, 12
	s_waitcnt lgkmcnt(0)
	v_mul_hi_u32 v3, s11, v4
	v_add_u32_e32 v3, v4, v3
	v_lshrrev_b32_e32 v3, s9, v3
	s_addc_u32 s3, s3, 0
	v_mul_lo_u32 v5, v3, s10
	s_add_u32 s6, s6, 8
	v_sub_u32_e32 v5, v4, v5
	s_addc_u32 s7, s7, 0
	s_add_i32 s8, s8, -1
	v_mov_b32_e32 v4, v3
	v_mad_u64_u32 v[6:7], s[10:11], v5, s13, v[6:7]
	v_mad_u64_u32 v[2:3], s[10:11], v5, s12, v[2:3]
	s_cmp_lg_u32 s8, 0
	v_mov_b32_e32 v3, v6
	s_cbranch_scc1 .LBB7_42
; %bb.43:
	v_mov_b32_e32 v16, v3
	s_cbranch_execnz .LBB7_46
.LBB7_44:
	s_load_dwordx4 s[8:11], s[4:5], 0x4
	s_load_dwordx2 s[2:3], s[4:5], 0xc4
	s_cmp_lt_u32 s33, 2
	s_waitcnt lgkmcnt(0)
	v_mul_hi_u32 v2, s9, v1
	v_add_u32_e32 v2, v1, v2
	v_lshrrev_b32_e32 v3, s10, v2
	v_mul_lo_u32 v2, v3, s8
	v_sub_u32_e32 v1, v1, v2
	v_mul_lo_u32 v16, v1, s3
	v_mul_lo_u32 v2, v1, s2
	s_cbranch_scc1 .LBB7_46
; %bb.45:
	s_load_dwordx4 s[8:11], s[4:5], 0x10
	s_load_dwordx2 s[2:3], s[4:5], 0xcc
	s_waitcnt lgkmcnt(0)
	v_mul_hi_u32 v1, s9, v3
	v_add_u32_e32 v1, v3, v1
	v_lshrrev_b32_e32 v1, s10, v1
	v_mul_lo_u32 v1, v1, s8
	v_sub_u32_e32 v1, v3, v1
	v_mad_u64_u32 v[2:3], s[6:7], v1, s2, v[2:3]
	v_mad_u64_u32 v[16:17], s[2:3], v1, s3, v[16:17]
.LBB7_46:
	s_and_b64 vcc, exec, s[0:1]
	v_add_u32_e32 v1, 0x100, v24
	s_cbranch_vccnz .LBB7_53
; %bb.47:
	s_mov_b32 s2, 0
	s_cmp_lg_u32 s33, 0
	v_mov_b32_e32 v14, 0
	v_mov_b32_e32 v4, 0
	s_cbranch_scc0 .LBB7_52
; %bb.48:
	s_waitcnt lgkmcnt(0)
	s_min_u32 s30, s58, 15
	s_add_i32 s30, s30, 1
	s_cmp_eq_u32 s58, 2
	s_cbranch_scc1 .LBB7_54
; %bb.49:
	s_add_u32 s6, s4, 0xc4
	s_addc_u32 s7, s5, 0
	s_and_b32 s2, s30, 28
	s_mov_b32 s3, 0
	v_mov_b32_e32 v4, 0
	s_mov_b64 s[28:29], s[4:5]
	v_mov_b32_e32 v3, v1
	v_mov_b32_e32 v14, 0
.LBB7_50:                               ; =>This Inner Loop Header: Depth=1
	s_load_dwordx8 s[16:23], s[28:29], 0x4
	s_load_dwordx4 s[24:27], s[28:29], 0x24
	s_load_dwordx8 s[8:15], s[6:7], 0x0
	s_add_u32 s28, s28, 48
	s_addc_u32 s29, s29, 0
	s_waitcnt lgkmcnt(0)
	v_mul_hi_u32 v5, s17, v3
	v_add_u32_e32 v5, v3, v5
	v_lshrrev_b32_e32 v5, s18, v5
	v_mul_lo_u32 v6, v5, s16
	v_mul_hi_u32 v7, s20, v5
	v_sub_u32_e32 v3, v3, v6
	v_add_u32_e32 v6, v5, v7
	v_lshrrev_b32_e32 v6, s21, v6
	v_mul_lo_u32 v9, v6, s19
	v_mul_hi_u32 v11, s23, v6
	v_sub_u32_e32 v5, v5, v9
	v_add_u32_e32 v9, v6, v11
	v_mul_lo_u32 v7, v3, s9
	v_mul_lo_u32 v3, v3, s8
	;; [unrolled: 1-line block ×4, first 2 shown]
	v_lshrrev_b32_e32 v9, s24, v9
	v_add3_u32 v4, v3, v4, v5
	v_add3_u32 v5, v7, v14, v11
	v_mul_lo_u32 v3, v9, s22
	v_mul_hi_u32 v7, s26, v9
	v_sub_u32_e32 v3, v6, v3
	v_add_u32_e32 v6, v9, v7
	v_mul_lo_u32 v7, v3, s12
	v_mul_lo_u32 v11, v3, s13
	v_lshrrev_b32_e32 v3, s27, v6
	s_add_i32 s3, s3, 4
	v_mul_lo_u32 v6, v3, s25
	s_add_u32 s6, s6, 32
	v_sub_u32_e32 v6, v9, v6
	s_addc_u32 s7, s7, 0
	v_mul_lo_u32 v9, v6, s14
	v_mul_lo_u32 v6, v6, s15
	s_cmp_lg_u32 s2, s3
	v_add3_u32 v14, v11, v5, v6
	v_add3_u32 v4, v7, v4, v9
	s_cbranch_scc1 .LBB7_50
; %bb.51:
	v_mov_b32_e32 v5, v14
	s_and_b32 s8, s30, 3
	s_cmp_eq_u32 s8, 0
	s_cbranch_scc0 .LBB7_55
.LBB7_52:
	s_cbranch_execz .LBB7_58
	s_branch .LBB7_60
.LBB7_53:
                                        ; implicit-def: $vgpr14
                                        ; implicit-def: $vgpr4
	s_branch .LBB7_58
.LBB7_54:
	s_mov_b32 s3, s2
	v_pk_mov_b32 v[4:5], s[2:3], s[2:3] op_sel:[0,1]
                                        ; implicit-def: $vgpr14
	v_mov_b32_e32 v3, v1
	s_and_b32 s8, s30, 3
	s_cmp_eq_u32 s8, 0
	s_cbranch_scc1 .LBB7_52
.LBB7_55:
	s_lshl_b32 s3, s2, 3
	s_add_u32 s3, s3, s4
	s_addc_u32 s7, 0, s5
	s_add_u32 s6, s3, 0xc4
	s_addc_u32 s7, s7, 0
	s_mul_i32 s2, s2, 12
	s_add_u32 s2, s4, s2
	s_addc_u32 s3, 0, s5
.LBB7_56:                               ; =>This Inner Loop Header: Depth=1
	s_load_dwordx2 s[10:11], s[2:3], 0x4
	s_load_dword s9, s[2:3], 0xc
	s_load_dwordx2 s[12:13], s[6:7], 0x0
	v_mov_b32_e32 v6, v5
	s_add_u32 s2, s2, 12
	s_waitcnt lgkmcnt(0)
	v_mul_hi_u32 v5, s11, v3
	v_add_u32_e32 v5, v3, v5
	v_lshrrev_b32_e32 v5, s9, v5
	s_addc_u32 s3, s3, 0
	v_mul_lo_u32 v7, v5, s10
	s_add_u32 s6, s6, 8
	v_sub_u32_e32 v9, v3, v7
	s_addc_u32 s7, s7, 0
	s_add_i32 s8, s8, -1
	v_mov_b32_e32 v3, v5
	v_mad_u64_u32 v[6:7], s[10:11], v9, s13, v[6:7]
	v_mad_u64_u32 v[4:5], s[10:11], v9, s12, v[4:5]
	s_cmp_lg_u32 s8, 0
	v_mov_b32_e32 v5, v6
	s_cbranch_scc1 .LBB7_56
; %bb.57:
	v_mov_b32_e32 v14, v5
	s_cbranch_execnz .LBB7_60
.LBB7_58:
	s_load_dwordx4 s[8:11], s[4:5], 0x4
	s_load_dwordx2 s[2:3], s[4:5], 0xc4
	s_cmp_lt_u32 s33, 2
	s_waitcnt lgkmcnt(0)
	v_mul_hi_u32 v3, s9, v1
	v_add_u32_e32 v3, v1, v3
	v_lshrrev_b32_e32 v3, s10, v3
	v_mul_lo_u32 v4, v3, s8
	v_sub_u32_e32 v1, v1, v4
	v_mul_lo_u32 v14, v1, s3
	v_mul_lo_u32 v4, v1, s2
	s_cbranch_scc1 .LBB7_60
; %bb.59:
	s_load_dwordx4 s[8:11], s[4:5], 0x10
	s_load_dwordx2 s[2:3], s[4:5], 0xcc
	s_waitcnt lgkmcnt(0)
	v_mul_hi_u32 v1, s9, v3
	v_add_u32_e32 v1, v3, v1
	v_lshrrev_b32_e32 v1, s10, v1
	v_mul_lo_u32 v1, v1, s8
	v_sub_u32_e32 v1, v3, v1
	v_mad_u64_u32 v[4:5], s[6:7], v1, s2, v[4:5]
	v_mad_u64_u32 v[14:15], s[2:3], v1, s3, v[14:15]
.LBB7_60:
	s_and_b64 vcc, exec, s[0:1]
	s_cbranch_vccnz .LBB7_67
; %bb.61:
	s_mov_b32 s6, 0
	s_cmp_lg_u32 s33, 0
	v_mov_b32_e32 v12, 0
	v_mov_b32_e32 v6, 0
	s_cbranch_scc0 .LBB7_66
; %bb.62:
	s_waitcnt lgkmcnt(0)
	s_min_u32 s28, s58, 15
	s_add_i32 s28, s28, 1
	s_cmp_eq_u32 s58, 2
	s_cbranch_scc1 .LBB7_68
; %bb.63:
	s_add_u32 s24, s4, 0xc4
	s_addc_u32 s25, s5, 0
	s_and_b32 s6, s28, 28
	s_mov_b32 s7, 0
	v_mov_b32_e32 v6, 0
	s_mov_b64 s[26:27], s[4:5]
	v_mov_b32_e32 v1, v10
	v_mov_b32_e32 v12, 0
.LBB7_64:                               ; =>This Inner Loop Header: Depth=1
	s_load_dwordx8 s[16:23], s[26:27], 0x4
	s_load_dwordx4 s[0:3], s[26:27], 0x24
	s_load_dwordx8 s[8:15], s[24:25], 0x0
	s_add_u32 s26, s26, 48
	s_addc_u32 s27, s27, 0
	s_waitcnt lgkmcnt(0)
	v_mul_hi_u32 v3, s17, v1
	v_add_u32_e32 v3, v1, v3
	v_lshrrev_b32_e32 v3, s18, v3
	v_mul_lo_u32 v5, v3, s16
	v_mul_hi_u32 v7, s20, v3
	v_sub_u32_e32 v1, v1, v5
	v_add_u32_e32 v5, v3, v7
	v_lshrrev_b32_e32 v5, s21, v5
	v_mul_lo_u32 v9, v5, s19
	v_mul_hi_u32 v11, s23, v5
	v_sub_u32_e32 v3, v3, v9
	v_add_u32_e32 v9, v5, v11
	v_mul_lo_u32 v7, v1, s9
	v_mul_lo_u32 v1, v1, s8
	;; [unrolled: 1-line block ×4, first 2 shown]
	v_lshrrev_b32_e32 v9, s0, v9
	v_add3_u32 v3, v1, v6, v3
	v_add3_u32 v6, v7, v12, v11
	v_mul_lo_u32 v1, v9, s22
	v_mul_hi_u32 v7, s2, v9
	v_sub_u32_e32 v1, v5, v1
	v_add_u32_e32 v5, v9, v7
	v_mul_lo_u32 v7, v1, s12
	v_mul_lo_u32 v11, v1, s13
	v_lshrrev_b32_e32 v1, s3, v5
	s_add_i32 s7, s7, 4
	v_mul_lo_u32 v5, v1, s1
	s_add_u32 s24, s24, 32
	v_sub_u32_e32 v5, v9, v5
	s_addc_u32 s25, s25, 0
	v_mul_lo_u32 v9, v5, s14
	v_mul_lo_u32 v5, v5, s15
	s_cmp_lg_u32 s6, s7
	v_add3_u32 v12, v11, v6, v5
	v_add3_u32 v6, v7, v3, v9
	s_cbranch_scc1 .LBB7_64
; %bb.65:
	v_mov_b32_e32 v7, v12
	s_and_b32 s7, s28, 3
	s_cmp_eq_u32 s7, 0
	s_cbranch_scc0 .LBB7_69
.LBB7_66:
	s_cbranch_execz .LBB7_72
	s_branch .LBB7_74
.LBB7_67:
                                        ; implicit-def: $vgpr12
                                        ; implicit-def: $vgpr6
	s_branch .LBB7_72
.LBB7_68:
	s_mov_b32 s7, s6
	v_pk_mov_b32 v[6:7], s[6:7], s[6:7] op_sel:[0,1]
                                        ; implicit-def: $vgpr12
	v_mov_b32_e32 v1, v10
	s_and_b32 s7, s28, 3
	s_cmp_eq_u32 s7, 0
	s_cbranch_scc1 .LBB7_66
.LBB7_69:
	s_lshl_b32 s0, s6, 3
	s_add_u32 s0, s0, s4
	s_addc_u32 s1, 0, s5
	s_add_u32 s0, s0, 0xc4
	s_addc_u32 s1, s1, 0
	s_mul_i32 s2, s6, 12
	s_add_u32 s2, s4, s2
	s_addc_u32 s3, 0, s5
.LBB7_70:                               ; =>This Inner Loop Header: Depth=1
	s_load_dwordx2 s[8:9], s[2:3], 0x4
	s_load_dword s6, s[2:3], 0xc
	s_load_dwordx2 s[10:11], s[0:1], 0x0
	s_add_u32 s2, s2, 12
	s_addc_u32 s3, s3, 0
	s_waitcnt lgkmcnt(0)
	v_mul_hi_u32 v3, s9, v1
	v_add_u32_e32 v3, v1, v3
	v_lshrrev_b32_e32 v3, s6, v3
	v_mul_lo_u32 v5, v3, s8
	v_mov_b32_e32 v12, v7
	s_add_u32 s0, s0, 8
	v_sub_u32_e32 v5, v1, v5
	s_addc_u32 s1, s1, 0
	s_add_i32 s7, s7, -1
	v_mad_u64_u32 v[12:13], s[8:9], v5, s11, v[12:13]
	v_mad_u64_u32 v[6:7], s[8:9], v5, s10, v[6:7]
	s_cmp_lg_u32 s7, 0
	v_mov_b32_e32 v1, v3
	v_mov_b32_e32 v7, v12
	s_cbranch_scc1 .LBB7_70
; %bb.71:
	v_mov_b32_e32 v12, v7
	s_cbranch_execnz .LBB7_74
.LBB7_72:
	s_load_dwordx4 s[0:3], s[4:5], 0x4
	s_load_dwordx2 s[6:7], s[4:5], 0xc4
	s_cmp_lt_u32 s33, 2
	s_waitcnt lgkmcnt(0)
	v_mul_hi_u32 v1, s1, v10
	v_add_u32_e32 v1, v10, v1
	v_lshrrev_b32_e32 v1, s2, v1
	v_mul_lo_u32 v3, v1, s0
	v_sub_u32_e32 v3, v10, v3
	v_mul_lo_u32 v12, v3, s7
	v_mul_lo_u32 v6, v3, s6
	s_cbranch_scc1 .LBB7_74
; %bb.73:
	s_load_dwordx4 s[0:3], s[4:5], 0x10
	s_load_dwordx2 s[6:7], s[4:5], 0xcc
	s_waitcnt lgkmcnt(0)
	v_mul_hi_u32 v3, s1, v1
	v_add_u32_e32 v3, v1, v3
	v_lshrrev_b32_e32 v3, s2, v3
	v_mul_lo_u32 v3, v3, s0
	v_sub_u32_e32 v1, v1, v3
	v_mad_u64_u32 v[6:7], s[0:1], v1, s6, v[6:7]
	v_mad_u64_u32 v[12:13], s[0:1], v1, s7, v[12:13]
.LBB7_74:
	s_load_dwordx4 s[4:7], s[4:5], 0x148
	s_mov_b32 s2, 0
	s_mov_b32 s3, 0x7ff00000
	s_waitcnt lgkmcnt(0)
	global_load_dwordx2 v[18:19], v8, s[6:7]
	v_mov_b32_e32 v8, 0
	v_mov_b32_e32 v9, 0x7ff80000
	v_pk_mov_b32 v[10:11], v[8:9], v[8:9] op_sel:[0,1]
	s_waitcnt vmcnt(0)
	v_cmp_neq_f64_e64 s[0:1], |v[18:19]|, s[2:3]
	s_and_saveexec_b64 s[8:9], s[0:1]
	s_cbranch_execz .LBB7_96
; %bb.75:
	s_mov_b32 s0, 0x872b020c
	s_mov_b32 s1, 0x4059f916
	v_cmp_nlt_f64_e32 vcc, s[0:1], v[18:19]
	v_pk_mov_b32 v[10:11], 0, 0
	s_and_saveexec_b64 s[10:11], vcc
	s_cbranch_execz .LBB7_95
; %bb.76:
	s_mov_b32 s1, 0xc000b851
	s_mov_b32 s0, 0xeb851eb8
	v_cmp_ngt_f64_e32 vcc, s[0:1], v[18:19]
                                        ; implicit-def: $vgpr10_vgpr11
	s_and_saveexec_b64 s[12:13], vcc
	s_xor_b64 s[12:13], exec, s[12:13]
	s_cbranch_execz .LBB7_84
; %bb.77:
	s_mov_b32 s1, 0x4000b851
	v_cmp_nle_f64_e64 s[14:15], s[0:1], v[18:19]
	v_cmp_le_f64_e32 vcc, s[0:1], v[18:19]
	v_pk_mov_b32 v[10:11], 0, 0
	s_mov_b64 s[0:1], s[14:15]
	s_and_saveexec_b64 s[16:17], vcc
	s_cbranch_execz .LBB7_79
; %bb.78:
	s_mov_b32 s0, 0
	s_brev_b32 s1, 8
	v_cmp_gt_f64_e32 vcc, s[0:1], v[18:19]
	v_cndmask_b32_e64 v1, 0, 1, vcc
	v_lshlrev_b32_e32 v1, 8, v1
	v_ldexp_f64 v[10:11], v[18:19], v1
	v_rsq_f64_e32 v[20:21], v[10:11]
	v_mov_b32_e32 v1, 0xffffff80
	v_cndmask_b32_e32 v3, 0, v1, vcc
	v_add_f64 v[22:23], v[18:19], v[18:19]
	v_mul_f64 v[24:25], v[10:11], v[20:21]
	v_mul_f64 v[20:21], v[20:21], 0.5
	v_fma_f64 v[26:27], -v[20:21], v[24:25], 0.5
	v_fmac_f64_e32 v[24:25], v[24:25], v[26:27]
	v_fma_f64 v[28:29], -v[24:25], v[24:25], v[10:11]
	v_fmac_f64_e32 v[20:21], v[20:21], v[26:27]
	v_fmac_f64_e32 v[24:25], v[28:29], v[20:21]
	v_fma_f64 v[26:27], -v[24:25], v[24:25], v[10:11]
	v_fmac_f64_e32 v[24:25], v[26:27], v[20:21]
	v_ldexp_f64 v[20:21], v[24:25], v3
	v_mov_b32_e32 v3, 0x260
	v_cmp_class_f64_e32 vcc, v[10:11], v3
	v_cndmask_b32_e32 v21, v21, v11, vcc
	v_cndmask_b32_e32 v20, v20, v10, vcc
	s_mov_b32 s18, 0
	v_mul_f64 v[10:11], v[22:23], v[20:21]
	s_mov_b32 s19, 0x40080000
	v_div_scale_f64 v[22:23], s[20:21], s[18:19], s[18:19], v[10:11]
	v_rcp_f64_e32 v[24:25], v[22:23]
	v_fma_f64 v[26:27], -v[22:23], v[24:25], 1.0
	v_fmac_f64_e32 v[24:25], v[24:25], v[26:27]
	v_fma_f64 v[26:27], -v[22:23], v[24:25], 1.0
	v_fmac_f64_e32 v[24:25], v[24:25], v[26:27]
	v_div_scale_f64 v[26:27], vcc, v[10:11], s[18:19], v[10:11]
	v_mul_f64 v[28:29], v[26:27], v[24:25]
	v_fma_f64 v[22:23], -v[22:23], v[28:29], v[26:27]
	s_nop 1
	v_div_fmas_f64 v[22:23], v[22:23], v[24:25], v[28:29]
	v_div_fixup_f64 v[10:11], v[22:23], s[18:19], v[10:11]
	v_div_scale_f64 v[22:23], s[18:19], v[10:11], v[10:11], 1.0
	v_rcp_f64_e32 v[24:25], v[22:23]
	v_fma_f64 v[26:27], -v[22:23], v[24:25], 1.0
	v_fmac_f64_e32 v[24:25], v[24:25], v[26:27]
	v_fma_f64 v[26:27], -v[22:23], v[24:25], 1.0
	v_fmac_f64_e32 v[24:25], v[24:25], v[26:27]
	v_div_scale_f64 v[26:27], vcc, 1.0, v[10:11], 1.0
	v_mul_f64 v[28:29], v[26:27], v[24:25]
	v_fma_f64 v[22:23], -v[22:23], v[28:29], v[26:27]
	v_mov_b32_e32 v26, 0x871a9067
	s_nop 0
	v_div_fmas_f64 v[22:23], v[22:23], v[24:25], v[28:29]
	v_div_fixup_f64 v[22:23], v[22:23], v[10:11], 1.0
	v_mov_b32_e32 v24, 0x2537b658
	v_mov_b32_e32 v25, 0x3fd62dae
	v_fmac_f64_e32 v[24:25], 0, v[22:23]
	v_mov_b32_e32 v27, 0x402803e3
	v_fmac_f64_e32 v[26:27], v[22:23], v[24:25]
	v_mov_b32_e32 v24, 0xde2e1e3
	v_mov_b32_e32 v25, 0x405311e5
	v_fmac_f64_e32 v[24:25], v[22:23], v[26:27]
	v_mov_b32_e32 v26, 0xee40073c
	;; [unrolled: 3-line block ×12, first 2 shown]
	v_mov_b32_e32 v27, 0x402c311b
	v_fmac_f64_e32 v[26:27], v[22:23], v[28:29]
	v_fma_f64 v[26:27], v[22:23], v[26:27], 1.0
	v_fma_f64 v[22:23], v[22:23], v[24:25], 1.0
	v_div_scale_f64 v[24:25], s[18:19], v[26:27], v[26:27], v[22:23]
	v_rcp_f64_e32 v[28:29], v[24:25]
	v_fma_f64 v[30:31], -v[24:25], v[28:29], 1.0
	v_fmac_f64_e32 v[28:29], v[28:29], v[30:31]
	v_fma_f64 v[30:31], -v[24:25], v[28:29], 1.0
	v_fmac_f64_e32 v[28:29], v[28:29], v[30:31]
	v_div_scale_f64 v[30:31], vcc, v[22:23], v[26:27], v[22:23]
	v_mul_f64 v[32:33], v[30:31], v[28:29]
	v_fma_f64 v[24:25], -v[24:25], v[32:33], v[30:31]
	s_nop 1
	v_div_fmas_f64 v[24:25], v[24:25], v[28:29], v[32:33]
	v_cmp_gt_f64_e32 vcc, s[0:1], v[20:21]
	v_cndmask_b32_e64 v5, 0, 1, vcc
	v_lshlrev_b32_e32 v5, 8, v5
	v_div_fixup_f64 v[22:23], v[24:25], v[26:27], v[22:23]
	v_ldexp_f64 v[24:25], v[20:21], v5
	v_rsq_f64_e32 v[26:27], v[24:25]
	s_mov_b32 s0, 0x50429b6d
	s_mov_b32 s1, 0x3fe20dd7
	v_mul_f64 v[20:21], v[22:23], s[0:1]
	v_mul_f64 v[22:23], v[24:25], v[26:27]
	v_mul_f64 v[26:27], v[26:27], 0.5
	v_fma_f64 v[28:29], -v[26:27], v[22:23], 0.5
	v_fmac_f64_e32 v[22:23], v[22:23], v[28:29]
	v_fma_f64 v[30:31], -v[22:23], v[22:23], v[24:25]
	v_fmac_f64_e32 v[26:27], v[26:27], v[28:29]
	v_fmac_f64_e32 v[22:23], v[30:31], v[26:27]
	v_fma_f64 v[28:29], -v[22:23], v[22:23], v[24:25]
	v_fmac_f64_e32 v[22:23], v[28:29], v[26:27]
	v_cndmask_b32_e32 v1, 0, v1, vcc
	s_mov_b32 s0, 0x652b82fe
	v_ldexp_f64 v[22:23], v[22:23], v1
	v_cmp_class_f64_e32 vcc, v[24:25], v3
	s_mov_b32 s1, 0x3ff71547
	v_cndmask_b32_e32 v23, v23, v25, vcc
	v_cndmask_b32_e32 v22, v22, v24, vcc
	v_mul_f64 v[24:25], v[10:11], s[0:1]
	s_mov_b32 s0, 0xfefa39ef
	v_rndne_f64_e32 v[24:25], v[24:25]
	s_mov_b32 s1, 0xbfe62e42
	v_fma_f64 v[26:27], s[0:1], v[24:25], v[10:11]
	s_mov_b32 s0, 0x3b39803f
	s_mov_b32 s1, 0xbc7abc9e
	v_fmac_f64_e32 v[26:27], s[0:1], v[24:25]
	s_mov_b32 s0, 0x6a5dcb37
	v_mov_b32_e32 v28, 0xfca7ab0c
	v_mov_b32_e32 v29, 0x3e928af3
	s_mov_b32 s1, 0x3e5ade15
	v_fmac_f64_e32 v[28:29], s[0:1], v[26:27]
	v_mov_b32_e32 v30, 0x623fde64
	v_mov_b32_e32 v31, 0x3ec71dee
	v_fmac_f64_e32 v[30:31], v[26:27], v[28:29]
	v_mov_b32_e32 v28, 0x7c89e6b0
	v_mov_b32_e32 v29, 0x3efa0199
	v_fmac_f64_e32 v[28:29], v[26:27], v[30:31]
	v_mov_b32_e32 v30, 0x14761f6e
	v_mov_b32_e32 v31, 0x3f2a01a0
	v_fmac_f64_e32 v[30:31], v[26:27], v[28:29]
	v_mov_b32_e32 v28, 0x1852b7b0
	v_mov_b32_e32 v29, 0x3f56c16c
	v_fmac_f64_e32 v[28:29], v[26:27], v[30:31]
	v_mov_b32_e32 v30, 0x11122322
	v_mov_b32_e32 v31, 0x3f811111
	v_fmac_f64_e32 v[30:31], v[26:27], v[28:29]
	v_mov_b32_e32 v28, 0x555502a1
	v_mov_b32_e32 v29, 0x3fa55555
	v_fmac_f64_e32 v[28:29], v[26:27], v[30:31]
	v_mov_b32_e32 v30, 0x55555511
	v_mov_b32_e32 v31, 0x3fc55555
	v_fmac_f64_e32 v[30:31], v[26:27], v[28:29]
	v_mov_b32_e32 v28, 11
	v_mov_b32_e32 v29, 0x3fe00000
	s_mov_b32 s0, 0
	v_fmac_f64_e32 v[28:29], v[26:27], v[30:31]
	s_mov_b32 s1, 0x40900000
	v_fma_f64 v[28:29], v[26:27], v[28:29], 1.0
	v_cmp_nlt_f64_e32 vcc, s[0:1], v[10:11]
	s_mov_b32 s0, 0
	v_fma_f64 v[26:27], v[26:27], v[28:29], 1.0
	v_cvt_i32_f64_e32 v1, v[24:25]
	s_mov_b32 s1, 0xc090cc00
	v_ldexp_f64 v[24:25], v[26:27], v1
	v_mov_b32_e32 v1, 0x7ff00000
	v_cmp_ngt_f64_e64 s[0:1], s[0:1], v[10:11]
	v_cndmask_b32_e32 v1, v1, v25, vcc
	s_and_b64 vcc, s[0:1], vcc
	v_add_f64 v[22:23], v[22:23], v[22:23]
	v_cndmask_b32_e64 v11, 0, v1, s[0:1]
	v_cndmask_b32_e32 v10, 0, v24, vcc
	v_mul_f64 v[10:11], v[22:23], v[10:11]
	v_div_scale_f64 v[22:23], s[0:1], v[10:11], v[10:11], v[20:21]
	v_rcp_f64_e32 v[24:25], v[22:23]
	s_mov_b32 s0, 0xfd0a823a
	s_mov_b32 s1, 0x4020a402
	v_fma_f64 v[26:27], -v[22:23], v[24:25], 1.0
	v_fmac_f64_e32 v[24:25], v[24:25], v[26:27]
	v_fma_f64 v[26:27], -v[22:23], v[24:25], 1.0
	v_fmac_f64_e32 v[24:25], v[24:25], v[26:27]
	v_div_scale_f64 v[26:27], vcc, v[20:21], v[10:11], v[20:21]
	v_mul_f64 v[28:29], v[26:27], v[24:25]
	v_fma_f64 v[22:23], -v[22:23], v[28:29], v[26:27]
	s_nop 1
	v_div_fmas_f64 v[22:23], v[22:23], v[24:25], v[28:29]
	v_cmp_nlt_f64_e32 vcc, s[0:1], v[18:19]
	s_andn2_b64 s[0:1], s[14:15], exec
	s_and_b64 s[18:19], vcc, exec
	v_div_fixup_f64 v[10:11], v[22:23], v[10:11], v[20:21]
	s_or_b64 s[0:1], s[0:1], s[18:19]
.LBB7_79:
	s_or_b64 exec, exec, s[16:17]
	s_and_saveexec_b64 s[16:17], s[0:1]
	s_cbranch_execz .LBB7_83
; %bb.80:
	v_mov_b32_e32 v28, 0
	v_mul_f64 v[20:21], v[18:19], v[18:19]
	v_mov_b32_e32 v29, 0x3ff00000
	s_mov_b32 s20, 0
	v_mul_f64 v[22:23], v[18:19], v[20:21]
	s_mov_b64 s[18:19], 0
	s_mov_b32 s21, 0x3cb00000
	v_pk_mov_b32 v[26:27], v[28:29], v[28:29] op_sel:[0,1]
	v_pk_mov_b32 v[24:25], v[18:19], v[18:19] op_sel:[0,1]
	;; [unrolled: 1-line block ×3, first 2 shown]
.LBB7_81:                               ; =>This Inner Loop Header: Depth=1
	v_mul_f64 v[28:29], v[22:23], v[28:29]
	v_add_f64 v[30:31], v[26:27], 1.0
	v_mul_f64 v[18:19], v[22:23], v[18:19]
	v_div_scale_f64 v[32:33], s[0:1], v[30:31], v[30:31], v[28:29]
	v_add_f64 v[36:37], v[30:31], 1.0
	v_rcp_f64_e32 v[38:39], v[32:33]
	v_div_scale_f64 v[40:41], s[0:1], v[36:37], v[36:37], v[18:19]
	v_rcp_f64_e32 v[44:45], v[40:41]
	v_fma_f64 v[46:47], -v[32:33], v[38:39], 1.0
	v_fmac_f64_e32 v[38:39], v[38:39], v[46:47]
	v_fma_f64 v[48:49], -v[32:33], v[38:39], 1.0
	v_fma_f64 v[46:47], -v[40:41], v[44:45], 1.0
	v_fmac_f64_e32 v[44:45], v[44:45], v[46:47]
	v_div_scale_f64 v[34:35], vcc, v[28:29], v[30:31], v[28:29]
	v_fmac_f64_e32 v[38:39], v[38:39], v[48:49]
	v_fma_f64 v[46:47], -v[40:41], v[44:45], 1.0
	v_div_scale_f64 v[42:43], s[0:1], v[18:19], v[36:37], v[18:19]
	v_mul_f64 v[48:49], v[34:35], v[38:39]
	v_fmac_f64_e32 v[44:45], v[44:45], v[46:47]
	v_fma_f64 v[32:33], -v[32:33], v[48:49], v[34:35]
	v_mul_f64 v[34:35], v[42:43], v[44:45]
	v_div_fmas_f64 v[32:33], v[32:33], v[38:39], v[48:49]
	v_fma_f64 v[38:39], -v[40:41], v[34:35], v[42:43]
	s_mov_b64 vcc, s[0:1]
	v_div_fixup_f64 v[28:29], v[32:33], v[30:31], v[28:29]
	v_div_fmas_f64 v[30:31], v[38:39], v[44:45], v[34:35]
	v_div_fixup_f64 v[18:19], v[30:31], v[36:37], v[18:19]
	v_div_scale_f64 v[30:31], s[0:1], v[36:37], v[36:37], v[28:29]
	v_add_f64 v[26:27], v[36:37], 1.0
	v_rcp_f64_e32 v[34:35], v[30:31]
	v_div_scale_f64 v[38:39], s[0:1], v[26:27], v[26:27], v[18:19]
	v_rcp_f64_e32 v[42:43], v[38:39]
	v_fma_f64 v[44:45], -v[30:31], v[34:35], 1.0
	v_fmac_f64_e32 v[34:35], v[34:35], v[44:45]
	v_fma_f64 v[46:47], -v[30:31], v[34:35], 1.0
	v_fma_f64 v[44:45], -v[38:39], v[42:43], 1.0
	v_div_scale_f64 v[32:33], vcc, v[28:29], v[36:37], v[28:29]
	v_fmac_f64_e32 v[42:43], v[42:43], v[44:45]
	v_fmac_f64_e32 v[34:35], v[34:35], v[46:47]
	v_fma_f64 v[44:45], -v[38:39], v[42:43], 1.0
	v_mul_f64 v[46:47], v[32:33], v[34:35]
	v_div_scale_f64 v[40:41], s[0:1], v[18:19], v[26:27], v[18:19]
	v_fmac_f64_e32 v[42:43], v[42:43], v[44:45]
	v_fma_f64 v[30:31], -v[30:31], v[46:47], v[32:33]
	v_mul_f64 v[32:33], v[40:41], v[42:43]
	v_div_fmas_f64 v[30:31], v[30:31], v[34:35], v[46:47]
	v_fma_f64 v[34:35], -v[38:39], v[32:33], v[40:41]
	v_div_fixup_f64 v[28:29], v[30:31], v[36:37], v[28:29]
	s_mov_b64 vcc, s[0:1]
	v_div_fmas_f64 v[30:31], v[34:35], v[42:43], v[32:33]
	v_add_f64 v[20:21], v[20:21], v[28:29]
	v_div_fixup_f64 v[18:19], v[30:31], v[26:27], v[18:19]
	v_div_scale_f64 v[30:31], s[0:1], v[20:21], v[20:21], v[28:29]
	v_rcp_f64_e32 v[32:33], v[30:31]
	v_div_scale_f64 v[34:35], vcc, v[28:29], v[20:21], v[28:29]
	v_add_f64 v[24:25], v[24:25], v[18:19]
	v_fma_f64 v[36:37], -v[30:31], v[32:33], 1.0
	v_fmac_f64_e32 v[32:33], v[32:33], v[36:37]
	v_fma_f64 v[36:37], -v[30:31], v[32:33], 1.0
	v_fmac_f64_e32 v[32:33], v[32:33], v[36:37]
	v_mul_f64 v[36:37], v[34:35], v[32:33]
	v_fma_f64 v[30:31], -v[30:31], v[36:37], v[34:35]
	v_div_fmas_f64 v[30:31], v[30:31], v[32:33], v[36:37]
	v_div_fixup_f64 v[30:31], v[30:31], v[20:21], v[28:29]
	v_cmp_ngt_f64_e64 s[0:1], |v[30:31]|, s[20:21]
	s_or_b64 s[18:19], s[0:1], s[18:19]
	s_andn2_b64 exec, exec, s[18:19]
	s_cbranch_execnz .LBB7_81
; %bb.82:
	s_or_b64 exec, exec, s[18:19]
	s_mov_b32 s0, 0x42b70f8b
	s_mov_b32 s1, 0xbfd0907f
	v_mul_f64 v[18:19], v[24:25], s[0:1]
	s_mov_b32 s0, 0x962715b8
	s_mov_b32 s1, 0x3fd6b8c7
	v_fmac_f64_e32 v[18:19], s[0:1], v[20:21]
	v_cndmask_b32_e64 v11, v11, v19, s[14:15]
	v_cndmask_b32_e64 v10, v10, v18, s[14:15]
.LBB7_83:
	s_or_b64 exec, exec, s[16:17]
                                        ; implicit-def: $vgpr18_vgpr19
.LBB7_84:
	s_andn2_saveexec_b64 s[12:13], s[12:13]
	s_cbranch_execz .LBB7_94
; %bb.85:
	s_mov_b32 s0, 0
	s_brev_b32 s1, 9
	v_cmp_lt_f64_e32 vcc, s[0:1], v[18:19]
	v_cndmask_b32_e64 v1, 0, 1, vcc
	v_lshlrev_b32_e32 v1, 8, v1
	v_ldexp_f64 v[10:11], -v[18:19], v1
	v_rsq_f64_e32 v[20:21], v[10:11]
	v_mov_b32_e32 v1, 0xffffff80
	v_cndmask_b32_e32 v1, 0, v1, vcc
	v_mul_f64 v[18:19], v[18:19], -2.0
	v_mul_f64 v[22:23], v[10:11], v[20:21]
	v_mul_f64 v[20:21], v[20:21], 0.5
	v_fma_f64 v[24:25], -v[20:21], v[22:23], 0.5
	v_fmac_f64_e32 v[22:23], v[22:23], v[24:25]
	v_fma_f64 v[26:27], -v[22:23], v[22:23], v[10:11]
	v_fmac_f64_e32 v[20:21], v[20:21], v[24:25]
	v_fmac_f64_e32 v[22:23], v[26:27], v[20:21]
	v_fma_f64 v[24:25], -v[22:23], v[22:23], v[10:11]
	v_fmac_f64_e32 v[22:23], v[24:25], v[20:21]
	v_ldexp_f64 v[20:21], v[22:23], v1
	v_mov_b32_e32 v1, 0x260
	v_cmp_class_f64_e32 vcc, v[10:11], v1
	v_cndmask_b32_e32 v11, v21, v11, vcc
	v_cndmask_b32_e32 v10, v20, v10, vcc
	s_mov_b32 s14, 0
	v_mul_f64 v[18:19], v[18:19], v[10:11]
	s_mov_b32 s15, 0x40080000
	v_div_scale_f64 v[20:21], s[0:1], s[14:15], s[14:15], v[18:19]
	v_rcp_f64_e32 v[22:23], v[20:21]
	s_mov_b32 s17, 0x3fe921fb
	s_mov_b32 s16, 0x54442d18
	s_movk_i32 s0, 0xff80
	v_fma_f64 v[24:25], -v[20:21], v[22:23], 1.0
	v_fmac_f64_e32 v[22:23], v[22:23], v[24:25]
	v_fma_f64 v[24:25], -v[20:21], v[22:23], 1.0
	v_fmac_f64_e32 v[22:23], v[22:23], v[24:25]
	v_div_scale_f64 v[24:25], vcc, v[18:19], s[14:15], v[18:19]
	v_mul_f64 v[26:27], v[24:25], v[22:23]
	v_fma_f64 v[20:21], -v[20:21], v[26:27], v[24:25]
                                        ; implicit-def: $vgpr3
                                        ; implicit-def: $vgpr28_vgpr29
	s_nop 1
	v_div_fmas_f64 v[20:21], v[20:21], v[22:23], v[26:27]
	v_div_fixup_f64 v[24:25], v[20:21], s[14:15], v[18:19]
	s_mov_b32 s14, 0
	v_add_f64 v[18:19], v[24:25], s[16:17]
	s_mov_b32 s15, 0x41d00000
	v_cmp_nlt_f64_e64 s[14:15], |v[18:19]|, s[14:15]
                                        ; implicit-def: $vgpr26_vgpr27
	s_and_saveexec_b64 s[18:19], s[14:15]
	s_xor_b64 s[18:19], exec, s[18:19]
	s_cbranch_execz .LBB7_87
; %bb.86:
	s_mov_b32 s20, 0
	s_mov_b32 s21, 0x7b000000
	v_and_b32_e32 v1, 0x7fffffff, v19
	v_ldexp_f64 v[26:27], |v[18:19]|, s0
	v_cmp_ge_f64_e64 vcc, |v[18:19]|, s[20:21]
	v_trig_preop_f64 v[20:21], |v[18:19]|, 0
	v_cndmask_b32_e32 v27, v1, v27, vcc
	v_cndmask_b32_e32 v26, v18, v26, vcc
	v_trig_preop_f64 v[22:23], |v[18:19]|, 1
	v_mul_f64 v[30:31], v[20:21], v[26:27]
	v_mul_f64 v[28:29], v[22:23], v[26:27]
	v_fma_f64 v[20:21], v[20:21], v[26:27], -v[30:31]
	v_add_f64 v[32:33], v[28:29], v[20:21]
	v_add_f64 v[34:35], v[30:31], v[32:33]
	s_mov_b32 s0, 0
	v_ldexp_f64 v[36:37], v[34:35], -2
	s_mov_b32 s1, 0x7ff00000
	v_fract_f64_e32 v[38:39], v[36:37]
	v_cmp_neq_f64_e64 vcc, |v[36:37]|, s[0:1]
	v_cndmask_b32_e32 v37, 0, v39, vcc
	v_cndmask_b32_e32 v36, 0, v38, vcc
	v_add_f64 v[38:39], v[32:33], -v[28:29]
	v_add_f64 v[20:21], v[20:21], -v[38:39]
	;; [unrolled: 1-line block ×4, first 2 shown]
	v_fma_f64 v[22:23], v[22:23], v[26:27], -v[28:29]
	v_trig_preop_f64 v[28:29], |v[18:19]|, 2
	v_add_f64 v[20:21], v[20:21], v[38:39]
	v_mul_f64 v[38:39], v[28:29], v[26:27]
	v_add_f64 v[42:43], v[38:39], v[22:23]
	v_add_f64 v[44:45], v[42:43], v[20:21]
	v_add_f64 v[30:31], v[34:35], -v[30:31]
	v_add_f64 v[34:35], v[44:45], -v[42:43]
	v_add_f64 v[20:21], v[20:21], -v[34:35]
	v_add_f64 v[34:35], v[44:45], -v[34:35]
	v_add_f64 v[34:35], v[42:43], -v[34:35]
	v_add_f64 v[20:21], v[20:21], v[34:35]
	v_add_f64 v[34:35], v[42:43], -v[38:39]
	v_add_f64 v[22:23], v[22:23], -v[34:35]
	;; [unrolled: 1-line block ×4, first 2 shown]
	v_add_f64 v[22:23], v[22:23], v[34:35]
	v_add_f64 v[30:31], v[32:33], -v[30:31]
	v_add_f64 v[20:21], v[22:23], v[20:21]
	v_fma_f64 v[22:23], v[28:29], v[26:27], -v[38:39]
	v_add_f64 v[32:33], v[30:31], v[44:45]
	v_add_f64 v[20:21], v[22:23], v[20:21]
	v_ldexp_f64 v[22:23], v[36:37], 2
	v_add_f64 v[26:27], v[32:33], v[22:23]
	v_mov_b32_e32 v1, 0x40100000
	v_cmp_gt_f64_e32 vcc, 0, v[26:27]
	v_mov_b32_e32 v40, 0
	v_cndmask_b32_e32 v41, 0, v1, vcc
	v_add_f64 v[22:23], v[22:23], v[40:41]
	v_add_f64 v[26:27], v[32:33], v[22:23]
	v_cvt_i32_f64_e32 v1, v[26:27]
	v_cvt_f64_i32_e32 v[26:27], v1
	v_add_f64 v[22:23], v[22:23], -v[26:27]
	v_add_f64 v[26:27], v[32:33], v[22:23]
	v_add_f64 v[30:31], v[32:33], -v[30:31]
	v_cmp_le_f64_e32 vcc, 0.5, v[26:27]
	v_add_f64 v[30:31], v[44:45], -v[30:31]
	v_add_f64 v[22:23], v[26:27], -v[22:23]
	v_addc_co_u32_e64 v3, s[0:1], 0, v1, vcc
	v_mov_b32_e32 v1, 0x3ff00000
	v_add_f64 v[20:21], v[30:31], v[20:21]
	v_add_f64 v[22:23], v[32:33], -v[22:23]
	v_cndmask_b32_e32 v41, 0, v1, vcc
	v_add_f64 v[20:21], v[20:21], v[22:23]
	v_add_f64 v[22:23], v[26:27], -v[40:41]
	v_add_f64 v[26:27], v[22:23], v[20:21]
	v_add_f64 v[22:23], v[26:27], -v[22:23]
	s_mov_b32 s17, 0x3ff921fb
	v_add_f64 v[20:21], v[20:21], -v[22:23]
	v_mul_f64 v[22:23], v[26:27], s[16:17]
	s_mov_b32 s0, 0x33145c07
	v_fma_f64 v[28:29], v[26:27], s[16:17], -v[22:23]
	s_mov_b32 s1, 0x3c91a626
	v_fmac_f64_e32 v[28:29], s[0:1], v[26:27]
	v_fmac_f64_e32 v[28:29], s[16:17], v[20:21]
	v_add_f64 v[26:27], v[22:23], v[28:29]
	v_add_f64 v[20:21], v[26:27], -v[22:23]
	v_add_f64 v[28:29], v[28:29], -v[20:21]
	s_andn2_saveexec_b64 s[0:1], s[18:19]
	s_cbranch_execz .LBB7_89
	s_branch .LBB7_88
.LBB7_87:
	s_andn2_saveexec_b64 s[0:1], s[18:19]
	s_cbranch_execz .LBB7_89
.LBB7_88:
	s_mov_b32 s16, 0x6dc9c883
	s_mov_b32 s17, 0x3fe45f30
	v_mul_f64 v[20:21], |v[18:19]|, s[16:17]
	s_mov_b32 s16, 0x54442d18
	v_rndne_f64_e32 v[20:21], v[20:21]
	s_mov_b32 s17, 0xbff921fb
	v_fma_f64 v[22:23], v[20:21], s[16:17], |v[18:19]|
	s_mov_b32 s17, 0xbc91a626
	s_mov_b32 s16, 0x33145c00
	v_mul_f64 v[26:27], v[20:21], s[16:17]
	v_add_f64 v[32:33], v[22:23], v[26:27]
	v_fma_f64 v[28:29], s[16:17], v[20:21], v[22:23]
	s_mov_b32 s17, 0x3c91a626
	v_add_f64 v[22:23], v[22:23], -v[32:33]
	v_fma_f64 v[30:31], s[16:17], v[20:21], v[26:27]
	v_add_f64 v[22:23], v[22:23], v[26:27]
	v_add_f64 v[26:27], v[32:33], -v[28:29]
	v_add_f64 v[22:23], v[26:27], v[22:23]
	s_mov_b32 s16, 0x252049c0
	v_add_f64 v[22:23], v[22:23], -v[30:31]
	s_mov_b32 s17, 0xb97b839a
	v_fmac_f64_e32 v[22:23], s[16:17], v[20:21]
	v_add_f64 v[26:27], v[28:29], v[22:23]
	v_add_f64 v[28:29], v[26:27], -v[28:29]
	v_add_f64 v[28:29], v[22:23], -v[28:29]
	v_cvt_i32_f64_e32 v3, v[20:21]
.LBB7_89:
	s_or_b64 exec, exec, s[0:1]
                                        ; implicit-def: $vgpr1
                                        ; implicit-def: $vgpr20_vgpr21
                                        ; implicit-def: $vgpr22_vgpr23
	s_and_saveexec_b64 s[0:1], s[14:15]
	s_xor_b64 s[14:15], exec, s[0:1]
	s_cbranch_execz .LBB7_91
; %bb.90:
	s_mov_b32 s0, 0
	s_mov_b32 s1, 0x7b000000
	s_movk_i32 s16, 0xff80
	v_and_b32_e32 v1, 0x7fffffff, v19
	v_ldexp_f64 v[30:31], |v[18:19]|, s16
	v_cmp_ge_f64_e64 vcc, |v[18:19]|, s[0:1]
	v_trig_preop_f64 v[20:21], |v[18:19]|, 0
	v_cndmask_b32_e32 v31, v1, v31, vcc
	v_cndmask_b32_e32 v30, v18, v30, vcc
	v_trig_preop_f64 v[22:23], |v[18:19]|, 1
	v_mul_f64 v[34:35], v[20:21], v[30:31]
	v_mul_f64 v[32:33], v[22:23], v[30:31]
	v_fma_f64 v[20:21], v[20:21], v[30:31], -v[34:35]
	v_add_f64 v[36:37], v[32:33], v[20:21]
	v_add_f64 v[38:39], v[34:35], v[36:37]
	s_mov_b32 s0, 0
	v_ldexp_f64 v[40:41], v[38:39], -2
	s_mov_b32 s1, 0x7ff00000
	v_fract_f64_e32 v[42:43], v[40:41]
	v_cmp_neq_f64_e64 vcc, |v[40:41]|, s[0:1]
	v_cndmask_b32_e32 v41, 0, v43, vcc
	v_cndmask_b32_e32 v40, 0, v42, vcc
	v_add_f64 v[42:43], v[36:37], -v[32:33]
	v_add_f64 v[20:21], v[20:21], -v[42:43]
	;; [unrolled: 1-line block ×4, first 2 shown]
	v_fma_f64 v[22:23], v[22:23], v[30:31], -v[32:33]
	v_trig_preop_f64 v[32:33], |v[18:19]|, 2
	v_add_f64 v[20:21], v[20:21], v[42:43]
	v_mul_f64 v[42:43], v[32:33], v[30:31]
	v_add_f64 v[46:47], v[42:43], v[22:23]
	v_add_f64 v[48:49], v[46:47], v[20:21]
	v_add_f64 v[34:35], v[38:39], -v[34:35]
	v_add_f64 v[38:39], v[48:49], -v[46:47]
	;; [unrolled: 1-line block ×5, first 2 shown]
	v_add_f64 v[20:21], v[20:21], v[38:39]
	v_add_f64 v[38:39], v[46:47], -v[42:43]
	v_add_f64 v[22:23], v[22:23], -v[38:39]
	;; [unrolled: 1-line block ×4, first 2 shown]
	v_add_f64 v[22:23], v[22:23], v[38:39]
	v_add_f64 v[34:35], v[36:37], -v[34:35]
	v_add_f64 v[20:21], v[22:23], v[20:21]
	v_fma_f64 v[22:23], v[32:33], v[30:31], -v[42:43]
	v_add_f64 v[36:37], v[34:35], v[48:49]
	v_add_f64 v[20:21], v[22:23], v[20:21]
	v_ldexp_f64 v[22:23], v[40:41], 2
	v_add_f64 v[30:31], v[36:37], v[22:23]
	v_mov_b32_e32 v1, 0x40100000
	v_cmp_gt_f64_e32 vcc, 0, v[30:31]
	v_mov_b32_e32 v44, 0
	v_cndmask_b32_e32 v45, 0, v1, vcc
	v_add_f64 v[22:23], v[22:23], v[44:45]
	v_add_f64 v[30:31], v[36:37], v[22:23]
	v_cvt_i32_f64_e32 v1, v[30:31]
	v_cvt_f64_i32_e32 v[30:31], v1
	v_add_f64 v[22:23], v[22:23], -v[30:31]
	v_add_f64 v[34:35], v[36:37], -v[34:35]
	v_add_f64 v[30:31], v[36:37], v[22:23]
	v_add_f64 v[34:35], v[48:49], -v[34:35]
	v_add_f64 v[22:23], v[30:31], -v[22:23]
	v_cmp_le_f64_e32 vcc, 0.5, v[30:31]
	v_mov_b32_e32 v5, 0x3ff00000
	v_add_f64 v[20:21], v[34:35], v[20:21]
	v_add_f64 v[22:23], v[36:37], -v[22:23]
	v_cndmask_b32_e32 v45, 0, v5, vcc
	v_add_f64 v[20:21], v[20:21], v[22:23]
	v_addc_co_u32_e64 v1, s[0:1], 0, v1, vcc
	v_add_f64 v[22:23], v[30:31], -v[44:45]
	v_add_f64 v[30:31], v[22:23], v[20:21]
	s_mov_b32 s0, 0x54442d18
	v_add_f64 v[22:23], v[30:31], -v[22:23]
	s_mov_b32 s1, 0x3ff921fb
	v_add_f64 v[20:21], v[20:21], -v[22:23]
	v_mul_f64 v[22:23], v[30:31], s[0:1]
	s_mov_b32 s16, 0x33145c07
	v_fma_f64 v[32:33], v[30:31], s[0:1], -v[22:23]
	s_mov_b32 s17, 0x3c91a626
	v_fmac_f64_e32 v[32:33], s[16:17], v[30:31]
	v_fmac_f64_e32 v[32:33], s[0:1], v[20:21]
	v_add_f64 v[20:21], v[22:23], v[32:33]
	v_add_f64 v[22:23], v[20:21], -v[22:23]
	v_add_f64 v[22:23], v[32:33], -v[22:23]
	s_andn2_saveexec_b64 s[0:1], s[14:15]
	s_cbranch_execnz .LBB7_92
	s_branch .LBB7_93
.LBB7_91:
	s_andn2_saveexec_b64 s[0:1], s[14:15]
	s_cbranch_execz .LBB7_93
.LBB7_92:
	s_mov_b32 s14, 0x6dc9c883
	s_mov_b32 s15, 0x3fe45f30
	v_mul_f64 v[20:21], |v[18:19]|, s[14:15]
	s_mov_b32 s14, 0x54442d18
	v_rndne_f64_e32 v[30:31], v[20:21]
	s_mov_b32 s15, 0xbff921fb
	v_fma_f64 v[20:21], v[30:31], s[14:15], |v[18:19]|
	s_mov_b32 s15, 0xbc91a626
	s_mov_b32 s14, 0x33145c00
	v_mul_f64 v[32:33], v[30:31], s[14:15]
	v_add_f64 v[36:37], v[20:21], v[32:33]
	v_fma_f64 v[22:23], s[14:15], v[30:31], v[20:21]
	s_mov_b32 s15, 0x3c91a626
	v_add_f64 v[20:21], v[20:21], -v[36:37]
	v_fma_f64 v[34:35], s[14:15], v[30:31], v[32:33]
	v_add_f64 v[20:21], v[20:21], v[32:33]
	v_add_f64 v[32:33], v[36:37], -v[22:23]
	v_add_f64 v[20:21], v[32:33], v[20:21]
	s_mov_b32 s14, 0x252049c0
	v_add_f64 v[32:33], v[20:21], -v[34:35]
	s_mov_b32 s15, 0xb97b839a
	v_fmac_f64_e32 v[32:33], s[14:15], v[30:31]
	v_add_f64 v[20:21], v[22:23], v[32:33]
	v_add_f64 v[22:23], v[20:21], -v[22:23]
	v_add_f64 v[22:23], v[32:33], -v[22:23]
	v_cvt_i32_f64_e32 v1, v[30:31]
.LBB7_93:
	s_or_b64 exec, exec, s[0:1]
	v_div_scale_f64 v[30:31], s[0:1], v[24:25], v[24:25], 1.0
	v_rcp_f64_e32 v[32:33], v[30:31]
	v_div_scale_f64 v[34:35], vcc, 1.0, v[24:25], 1.0
	v_mov_b32_e32 v38, 0xaf76e73b
	v_fma_f64 v[36:37], -v[30:31], v[32:33], 1.0
	v_fmac_f64_e32 v[32:33], v[32:33], v[36:37]
	v_fma_f64 v[36:37], -v[30:31], v[32:33], 1.0
	v_fmac_f64_e32 v[32:33], v[32:33], v[36:37]
	v_mul_f64 v[36:37], v[34:35], v[32:33]
	v_fma_f64 v[30:31], -v[30:31], v[36:37], v[34:35]
	v_div_fmas_f64 v[30:31], v[30:31], v[32:33], v[36:37]
	v_div_fixup_f64 v[24:25], v[30:31], v[24:25], 1.0
	v_mul_f64 v[30:31], v[24:25], v[24:25]
	v_mov_b32_e32 v32, 0xd50ae6fb
	v_mov_b32_e32 v33, 0xbfc0db6c
	v_fmac_f64_e32 v[32:33], 0, v[30:31]
	v_mov_b32_e32 v34, 0x98566852
	v_mov_b32_e32 v35, 0xbfe40bee
	v_fmac_f64_e32 v[34:35], v[30:31], v[32:33]
	;; [unrolled: 3-line block ×15, first 2 shown]
	v_mov_b32_e32 v39, 0x3f13c8d7
	v_fmac_f64_e32 v[38:39], v[30:31], v[32:33]
	v_mov_b32_e32 v36, 0xb99518a7
	v_mov_b32_e32 v37, 0x3e9e52b9
	v_mul_f64 v[40:41], v[26:27], v[26:27]
	v_fmac_f64_e32 v[36:37], v[30:31], v[38:39]
	v_mov_b32_e32 v38, 0xf68ea2d2
	v_mov_b32_e32 v39, 0xbe52041c
	v_mul_f64 v[32:33], v[40:41], 0.5
	v_fmac_f64_e32 v[38:39], v[30:31], v[34:35]
	v_add_f64 v[34:35], -v[32:33], 1.0
	s_mov_b32 s0, 0x9037ab78
	v_add_f64 v[42:43], -v[34:35], 1.0
	s_mov_b32 s1, 0x3e21eeb6
	s_mov_b32 s14, 0x46cc5e42
	v_add_f64 v[42:43], v[42:43], -v[32:33]
	s_mov_b32 s15, 0xbda907db
	v_pk_mov_b32 v[32:33], s[0:1], s[0:1] op_sel:[0,1]
	s_mov_b32 s16, 0xa17f65f6
	v_fma_f64 v[46:47], s[14:15], v[40:41], v[32:33]
	s_mov_b32 s17, 0xbe927e4f
	s_mov_b32 s18, 0x19f4ec90
	v_fma_f64 v[46:47], v[40:41], v[46:47], s[16:17]
	s_mov_b32 s19, 0x3efa01a0
	;; [unrolled: 3-line block ×4, first 2 shown]
	v_mul_f64 v[44:45], v[40:41], v[40:41]
	v_fma_f64 v[46:47], v[40:41], v[46:47], s[22:23]
	v_fma_f64 v[42:43], v[26:27], -v[28:29], v[42:43]
	s_mov_b32 s0, 0xb42fdfa7
	v_fmac_f64_e32 v[42:43], v[44:45], v[46:47]
	s_mov_b32 s1, 0xbe5ae600
	s_mov_b32 s24, 0xf9a43bb8
	v_add_f64 v[42:43], v[34:35], v[42:43]
	s_mov_b32 s25, 0x3de5e0b2
	v_pk_mov_b32 v[34:35], s[0:1], s[0:1] op_sel:[0,1]
	s_mov_b32 s26, 0x796cde01
	v_fma_f64 v[44:45], s[24:25], v[40:41], v[34:35]
	s_mov_b32 s27, 0x3ec71de3
	s_mov_b32 s28, 0x19e83e5c
	v_fma_f64 v[44:45], v[40:41], v[44:45], s[26:27]
	s_mov_b32 s29, 0xbf2a01a0
	s_mov_b32 s30, 0x11110bb3
	v_fma_f64 v[44:45], v[40:41], v[44:45], s[28:29]
	s_mov_b32 s31, 0x3f811111
	v_fma_f64 v[44:45], v[40:41], v[44:45], s[30:31]
	v_mul_f64 v[46:47], v[26:27], -v[40:41]
	v_mul_f64 v[48:49], v[28:29], 0.5
	v_fmac_f64_e32 v[48:49], v[46:47], v[44:45]
	v_fma_f64 v[28:29], v[40:41], v[48:49], -v[28:29]
	s_mov_b32 s35, 0xbfc55555
	s_mov_b32 s34, s22
	v_fmac_f64_e32 v[28:29], s[34:35], v[46:47]
	v_and_b32_e32 v5, 1, v3
	v_add_f64 v[26:27], v[26:27], -v[28:29]
	v_cmp_eq_u32_e32 vcc, 0, v5
	v_cndmask_b32_e32 v5, v42, v26, vcc
	v_cndmask_b32_e32 v7, v43, v27, vcc
	v_mul_f64 v[26:27], v[30:31], v[38:39]
	v_div_scale_f64 v[28:29], s[0:1], v[36:37], v[36:37], v[26:27]
	v_rcp_f64_e32 v[38:39], v[28:29]
	v_lshlrev_b32_e32 v3, 30, v3
	v_xor_b32_e32 v3, v3, v19
	s_movk_i32 s33, 0x1f8
	v_fma_f64 v[40:41], -v[28:29], v[38:39], 1.0
	v_fmac_f64_e32 v[38:39], v[38:39], v[40:41]
	v_fma_f64 v[40:41], -v[28:29], v[38:39], 1.0
	v_fmac_f64_e32 v[38:39], v[38:39], v[40:41]
	v_div_scale_f64 v[40:41], vcc, v[26:27], v[36:37], v[26:27]
	v_mul_f64 v[42:43], v[40:41], v[38:39]
	v_fma_f64 v[28:29], -v[28:29], v[42:43], v[40:41]
	s_mov_b32 s36, 0
	s_nop 0
	v_div_fmas_f64 v[28:29], v[28:29], v[38:39], v[42:43]
	v_div_fixup_f64 v[26:27], v[28:29], v[36:37], v[26:27]
	v_mov_b32_e32 v28, 0xddcfbbde
	v_mov_b32_e32 v29, 0x3f943525
	v_fmac_f64_e32 v[28:29], 0, v[30:31]
	v_mov_b32_e32 v36, 0x6437b7
	v_mov_b32_e32 v37, 0x3fd907d5
	v_fmac_f64_e32 v[36:37], v[30:31], v[28:29]
	;; [unrolled: 3-line block ×13, first 2 shown]
	v_mov_b32_e32 v36, 0x7ea7dc35
	v_mov_b32_e32 v37, 0x402f211b
	v_and_b32_e32 v3, 0x80000000, v3
	v_cmp_class_f64_e64 s[0:1], v[18:19], s33
	v_fmac_f64_e32 v[36:37], v[30:31], v[38:39]
	v_mov_b32_e32 v38, 0x2b79dbce
	v_mov_b32_e32 v39, 0x4015e84e
	s_brev_b32 s37, 8
	v_xor_b32_e32 v3, v7, v3
	v_cndmask_b32_e64 v18, 0, v5, s[0:1]
	v_mov_b32_e32 v5, 0x7ff80000
	v_fmac_f64_e32 v[38:39], v[30:31], v[36:37]
	v_mov_b32_e32 v36, 0xc195ece3
	v_mov_b32_e32 v37, 0x3fee8992
	v_cmp_gt_f64_e32 vcc, s[36:37], v[10:11]
	v_cndmask_b32_e64 v19, v5, v3, s[0:1]
	v_fmac_f64_e32 v[36:37], v[30:31], v[38:39]
	v_mov_b32_e32 v38, 0xed64a9ee
	v_mov_b32_e32 v39, 0x3fb6221d
	v_cndmask_b32_e64 v3, 0, 1, vcc
	v_fmac_f64_e32 v[38:39], v[30:31], v[36:37]
	v_mov_b32_e32 v36, 0x6be393bb
	v_mov_b32_e32 v37, 0x3f70e704
	v_lshlrev_b32_e32 v3, 8, v3
	v_fmac_f64_e32 v[36:37], v[30:31], v[38:39]
	v_mov_b32_e32 v38, 0xd603a5a0
	v_mov_b32_e32 v39, 0x3f1a8b61
	v_ldexp_f64 v[10:11], v[10:11], v3
	v_fmac_f64_e32 v[38:39], v[30:31], v[36:37]
	v_rsq_f64_e32 v[36:37], v[10:11]
	v_mov_b32_e32 v40, 0xdb0724e8
	v_mov_b32_e32 v41, 0x3eb3a845
	v_fmac_f64_e32 v[40:41], v[30:31], v[38:39]
	v_mul_f64 v[38:39], v[10:11], v[36:37]
	v_mul_f64 v[36:37], v[36:37], 0.5
	v_fma_f64 v[42:43], -v[36:37], v[38:39], 0.5
	v_fmac_f64_e32 v[38:39], v[38:39], v[42:43]
	v_fma_f64 v[44:45], -v[38:39], v[38:39], v[10:11]
	v_fmac_f64_e32 v[36:37], v[36:37], v[42:43]
	v_fmac_f64_e32 v[38:39], v[44:45], v[36:37]
	v_fma_f64 v[42:43], -v[38:39], v[38:39], v[10:11]
	v_mov_b32_e32 v3, 0xffffff80
	v_fmac_f64_e32 v[38:39], v[42:43], v[36:37]
	v_cndmask_b32_e32 v3, 0, v3, vcc
	v_ldexp_f64 v[36:37], v[38:39], v3
	v_mov_b32_e32 v3, 0x260
	v_cmp_class_f64_e32 vcc, v[10:11], v3
	s_mov_b32 s36, 0x50429b6d
	v_cndmask_b32_e32 v11, v37, v11, vcc
	v_cndmask_b32_e32 v10, v36, v10, vcc
	s_mov_b32 s37, 0x3fe20dd7
	v_div_scale_f64 v[36:37], s[38:39], v[10:11], v[10:11], s[36:37]
	v_rcp_f64_e32 v[38:39], v[36:37]
	v_mov_b32_e32 v42, 0x3dd589d4
	v_mov_b32_e32 v43, 0x3e351fc7
	v_fmac_f64_e32 v[42:43], v[30:31], v[40:41]
	v_fma_f64 v[30:31], -v[36:37], v[38:39], 1.0
	v_fmac_f64_e32 v[38:39], v[38:39], v[30:31]
	v_fma_f64 v[30:31], -v[36:37], v[38:39], 1.0
	v_fmac_f64_e32 v[38:39], v[38:39], v[30:31]
	v_div_scale_f64 v[30:31], vcc, s[36:37], v[10:11], s[36:37]
	v_mul_f64 v[40:41], v[30:31], v[38:39]
	v_fma_f64 v[30:31], -v[36:37], v[40:41], v[30:31]
	v_and_b32_e32 v7, 1, v1
	s_nop 0
	v_div_fmas_f64 v[30:31], v[30:31], v[38:39], v[40:41]
	v_div_fixup_f64 v[10:11], v[30:31], v[10:11], s[36:37]
	v_mul_f64 v[30:31], v[20:21], v[20:21]
	v_mul_f64 v[36:37], v[30:31], 0.5
	v_fmac_f64_e32 v[32:33], s[14:15], v[30:31]
	v_add_f64 v[38:39], -v[36:37], 1.0
	v_fma_f64 v[32:33], v[30:31], v[32:33], s[16:17]
	v_add_f64 v[40:41], -v[38:39], 1.0
	v_fma_f64 v[32:33], v[30:31], v[32:33], s[18:19]
	v_add_f64 v[36:37], v[40:41], -v[36:37]
	v_fma_f64 v[32:33], v[30:31], v[32:33], s[20:21]
	v_fmac_f64_e32 v[34:35], s[24:25], v[30:31]
	v_mul_f64 v[40:41], v[30:31], v[30:31]
	v_fma_f64 v[32:33], v[30:31], v[32:33], s[22:23]
	v_fma_f64 v[36:37], v[20:21], -v[22:23], v[36:37]
	v_fma_f64 v[34:35], v[30:31], v[34:35], s[26:27]
	v_fmac_f64_e32 v[36:37], v[40:41], v[32:33]
	v_fma_f64 v[34:35], v[30:31], v[34:35], s[28:29]
	v_add_f64 v[32:33], v[38:39], v[36:37]
	v_fma_f64 v[34:35], v[30:31], v[34:35], s[30:31]
	v_mul_f64 v[36:37], v[20:21], -v[30:31]
	v_mul_f64 v[38:39], v[22:23], 0.5
	v_fmac_f64_e32 v[38:39], v[36:37], v[34:35]
	v_fma_f64 v[22:23], v[30:31], v[38:39], -v[22:23]
	v_fmac_f64_e32 v[22:23], s[34:35], v[36:37]
	v_add_f64 v[20:21], v[20:21], -v[22:23]
	v_cmp_eq_u32_e32 vcc, 0, v7
	v_xor_b32_e32 v3, 0x80000000, v21
	v_cndmask_b32_e32 v7, v20, v32, vcc
	v_mul_f64 v[20:21], v[24:25], v[28:29]
	v_div_scale_f64 v[22:23], s[14:15], v[42:43], v[42:43], v[20:21]
	v_rcp_f64_e32 v[24:25], v[22:23]
	v_cndmask_b32_e32 v3, v3, v33, vcc
	v_lshlrev_b32_e32 v1, 30, v1
	v_and_b32_e32 v1, 0x80000000, v1
	v_fma_f64 v[30:31], -v[22:23], v[24:25], 1.0
	v_fmac_f64_e32 v[24:25], v[24:25], v[30:31]
	v_fma_f64 v[30:31], -v[22:23], v[24:25], 1.0
	v_fmac_f64_e32 v[24:25], v[24:25], v[30:31]
	v_div_scale_f64 v[30:31], vcc, v[20:21], v[42:43], v[20:21]
	v_mul_f64 v[32:33], v[30:31], v[24:25]
	v_fma_f64 v[22:23], -v[22:23], v[32:33], v[30:31]
	v_xor_b32_e32 v1, v3, v1
	s_nop 0
	v_div_fmas_f64 v[22:23], v[22:23], v[24:25], v[32:33]
	v_cndmask_b32_e64 v28, 0, v7, s[0:1]
	v_cndmask_b32_e64 v29, v5, v1, s[0:1]
	v_div_fixup_f64 v[20:21], v[22:23], v[42:43], v[20:21]
	v_add_f64 v[26:27], v[26:27], 1.0
	v_mul_f64 v[20:21], v[20:21], v[28:29]
	v_fma_f64 v[18:19], v[26:27], v[18:19], -v[20:21]
	v_mul_f64 v[10:11], v[10:11], v[18:19]
.LBB7_94:
	s_or_b64 exec, exec, s[12:13]
.LBB7_95:
	s_or_b64 exec, exec, s[10:11]
.LBB7_96:
	s_or_b64 exec, exec, s[8:9]
	global_load_dwordx2 v[16:17], v16, s[6:7]
	s_waitcnt vmcnt(0)
	v_cmp_neq_f64_e64 s[0:1], |v[16:17]|, s[2:3]
	s_and_saveexec_b64 s[2:3], s[0:1]
	s_cbranch_execz .LBB7_118
; %bb.97:
	s_mov_b32 s0, 0x872b020c
	s_mov_b32 s1, 0x4059f916
	v_cmp_nlt_f64_e32 vcc, s[0:1], v[16:17]
	v_pk_mov_b32 v[8:9], 0, 0
	s_and_saveexec_b64 s[8:9], vcc
	s_cbranch_execz .LBB7_117
; %bb.98:
	s_mov_b32 s1, 0xc000b851
	s_mov_b32 s0, 0xeb851eb8
	v_cmp_ngt_f64_e32 vcc, s[0:1], v[16:17]
                                        ; implicit-def: $vgpr8_vgpr9
	s_and_saveexec_b64 s[10:11], vcc
	s_xor_b64 s[10:11], exec, s[10:11]
	s_cbranch_execz .LBB7_106
; %bb.99:
	s_mov_b32 s1, 0x4000b851
	v_cmp_nle_f64_e64 s[12:13], s[0:1], v[16:17]
	v_cmp_le_f64_e32 vcc, s[0:1], v[16:17]
	v_pk_mov_b32 v[8:9], 0, 0
	s_mov_b64 s[0:1], s[12:13]
	s_and_saveexec_b64 s[14:15], vcc
	s_cbranch_execz .LBB7_101
; %bb.100:
	s_mov_b32 s0, 0
	s_brev_b32 s1, 8
	v_cmp_gt_f64_e32 vcc, s[0:1], v[16:17]
	v_cndmask_b32_e64 v1, 0, 1, vcc
	v_lshlrev_b32_e32 v1, 8, v1
	v_ldexp_f64 v[8:9], v[16:17], v1
	v_rsq_f64_e32 v[18:19], v[8:9]
	v_mov_b32_e32 v1, 0xffffff80
	v_cndmask_b32_e32 v3, 0, v1, vcc
	v_add_f64 v[20:21], v[16:17], v[16:17]
	v_mul_f64 v[22:23], v[8:9], v[18:19]
	v_mul_f64 v[18:19], v[18:19], 0.5
	v_fma_f64 v[24:25], -v[18:19], v[22:23], 0.5
	v_fmac_f64_e32 v[22:23], v[22:23], v[24:25]
	v_fma_f64 v[26:27], -v[22:23], v[22:23], v[8:9]
	v_fmac_f64_e32 v[18:19], v[18:19], v[24:25]
	v_fmac_f64_e32 v[22:23], v[26:27], v[18:19]
	v_fma_f64 v[24:25], -v[22:23], v[22:23], v[8:9]
	v_fmac_f64_e32 v[22:23], v[24:25], v[18:19]
	v_ldexp_f64 v[18:19], v[22:23], v3
	v_mov_b32_e32 v3, 0x260
	v_cmp_class_f64_e32 vcc, v[8:9], v3
	v_cndmask_b32_e32 v19, v19, v9, vcc
	v_cndmask_b32_e32 v18, v18, v8, vcc
	s_mov_b32 s16, 0
	v_mul_f64 v[8:9], v[20:21], v[18:19]
	s_mov_b32 s17, 0x40080000
	v_div_scale_f64 v[20:21], s[18:19], s[16:17], s[16:17], v[8:9]
	v_rcp_f64_e32 v[22:23], v[20:21]
	v_fma_f64 v[24:25], -v[20:21], v[22:23], 1.0
	v_fmac_f64_e32 v[22:23], v[22:23], v[24:25]
	v_fma_f64 v[24:25], -v[20:21], v[22:23], 1.0
	v_fmac_f64_e32 v[22:23], v[22:23], v[24:25]
	v_div_scale_f64 v[24:25], vcc, v[8:9], s[16:17], v[8:9]
	v_mul_f64 v[26:27], v[24:25], v[22:23]
	v_fma_f64 v[20:21], -v[20:21], v[26:27], v[24:25]
	s_nop 1
	v_div_fmas_f64 v[20:21], v[20:21], v[22:23], v[26:27]
	v_div_fixup_f64 v[8:9], v[20:21], s[16:17], v[8:9]
	v_div_scale_f64 v[20:21], s[16:17], v[8:9], v[8:9], 1.0
	v_rcp_f64_e32 v[22:23], v[20:21]
	v_fma_f64 v[24:25], -v[20:21], v[22:23], 1.0
	v_fmac_f64_e32 v[22:23], v[22:23], v[24:25]
	v_fma_f64 v[24:25], -v[20:21], v[22:23], 1.0
	v_fmac_f64_e32 v[22:23], v[22:23], v[24:25]
	v_div_scale_f64 v[24:25], vcc, 1.0, v[8:9], 1.0
	v_mul_f64 v[26:27], v[24:25], v[22:23]
	v_fma_f64 v[20:21], -v[20:21], v[26:27], v[24:25]
	v_mov_b32_e32 v24, 0x871a9067
	s_nop 0
	v_div_fmas_f64 v[20:21], v[20:21], v[22:23], v[26:27]
	v_div_fixup_f64 v[20:21], v[20:21], v[8:9], 1.0
	v_mov_b32_e32 v22, 0x2537b658
	v_mov_b32_e32 v23, 0x3fd62dae
	v_fmac_f64_e32 v[22:23], 0, v[20:21]
	v_mov_b32_e32 v25, 0x402803e3
	v_fmac_f64_e32 v[24:25], v[20:21], v[22:23]
	v_mov_b32_e32 v22, 0xde2e1e3
	v_mov_b32_e32 v23, 0x405311e5
	v_fmac_f64_e32 v[22:23], v[20:21], v[24:25]
	v_mov_b32_e32 v24, 0xee40073c
	;; [unrolled: 3-line block ×12, first 2 shown]
	v_mov_b32_e32 v25, 0x402c311b
	v_fmac_f64_e32 v[24:25], v[20:21], v[26:27]
	v_fma_f64 v[24:25], v[20:21], v[24:25], 1.0
	v_fma_f64 v[20:21], v[20:21], v[22:23], 1.0
	v_div_scale_f64 v[22:23], s[16:17], v[24:25], v[24:25], v[20:21]
	v_rcp_f64_e32 v[26:27], v[22:23]
	v_fma_f64 v[28:29], -v[22:23], v[26:27], 1.0
	v_fmac_f64_e32 v[26:27], v[26:27], v[28:29]
	v_fma_f64 v[28:29], -v[22:23], v[26:27], 1.0
	v_fmac_f64_e32 v[26:27], v[26:27], v[28:29]
	v_div_scale_f64 v[28:29], vcc, v[20:21], v[24:25], v[20:21]
	v_mul_f64 v[30:31], v[28:29], v[26:27]
	v_fma_f64 v[22:23], -v[22:23], v[30:31], v[28:29]
	s_nop 1
	v_div_fmas_f64 v[22:23], v[22:23], v[26:27], v[30:31]
	v_cmp_gt_f64_e32 vcc, s[0:1], v[18:19]
	v_cndmask_b32_e64 v5, 0, 1, vcc
	v_lshlrev_b32_e32 v5, 8, v5
	v_div_fixup_f64 v[20:21], v[22:23], v[24:25], v[20:21]
	v_ldexp_f64 v[22:23], v[18:19], v5
	v_rsq_f64_e32 v[24:25], v[22:23]
	s_mov_b32 s0, 0x50429b6d
	s_mov_b32 s1, 0x3fe20dd7
	v_mul_f64 v[18:19], v[20:21], s[0:1]
	v_mul_f64 v[20:21], v[22:23], v[24:25]
	v_mul_f64 v[24:25], v[24:25], 0.5
	v_fma_f64 v[26:27], -v[24:25], v[20:21], 0.5
	v_fmac_f64_e32 v[20:21], v[20:21], v[26:27]
	v_fma_f64 v[28:29], -v[20:21], v[20:21], v[22:23]
	v_fmac_f64_e32 v[24:25], v[24:25], v[26:27]
	v_fmac_f64_e32 v[20:21], v[28:29], v[24:25]
	v_fma_f64 v[26:27], -v[20:21], v[20:21], v[22:23]
	v_fmac_f64_e32 v[20:21], v[26:27], v[24:25]
	v_cndmask_b32_e32 v1, 0, v1, vcc
	s_mov_b32 s0, 0x652b82fe
	v_ldexp_f64 v[20:21], v[20:21], v1
	v_cmp_class_f64_e32 vcc, v[22:23], v3
	s_mov_b32 s1, 0x3ff71547
	v_cndmask_b32_e32 v21, v21, v23, vcc
	v_cndmask_b32_e32 v20, v20, v22, vcc
	v_mul_f64 v[22:23], v[8:9], s[0:1]
	s_mov_b32 s0, 0xfefa39ef
	v_rndne_f64_e32 v[22:23], v[22:23]
	s_mov_b32 s1, 0xbfe62e42
	v_fma_f64 v[24:25], s[0:1], v[22:23], v[8:9]
	s_mov_b32 s0, 0x3b39803f
	s_mov_b32 s1, 0xbc7abc9e
	v_fmac_f64_e32 v[24:25], s[0:1], v[22:23]
	s_mov_b32 s0, 0x6a5dcb37
	v_mov_b32_e32 v26, 0xfca7ab0c
	v_mov_b32_e32 v27, 0x3e928af3
	s_mov_b32 s1, 0x3e5ade15
	v_fmac_f64_e32 v[26:27], s[0:1], v[24:25]
	v_mov_b32_e32 v28, 0x623fde64
	v_mov_b32_e32 v29, 0x3ec71dee
	v_fmac_f64_e32 v[28:29], v[24:25], v[26:27]
	v_mov_b32_e32 v26, 0x7c89e6b0
	v_mov_b32_e32 v27, 0x3efa0199
	;; [unrolled: 3-line block ×8, first 2 shown]
	s_mov_b32 s0, 0
	v_fmac_f64_e32 v[26:27], v[24:25], v[28:29]
	s_mov_b32 s1, 0x40900000
	v_fma_f64 v[26:27], v[24:25], v[26:27], 1.0
	v_cmp_nlt_f64_e32 vcc, s[0:1], v[8:9]
	s_mov_b32 s0, 0
	v_fma_f64 v[24:25], v[24:25], v[26:27], 1.0
	v_cvt_i32_f64_e32 v1, v[22:23]
	s_mov_b32 s1, 0xc090cc00
	v_ldexp_f64 v[22:23], v[24:25], v1
	v_mov_b32_e32 v1, 0x7ff00000
	v_cmp_ngt_f64_e64 s[0:1], s[0:1], v[8:9]
	v_cndmask_b32_e32 v1, v1, v23, vcc
	s_and_b64 vcc, s[0:1], vcc
	v_add_f64 v[20:21], v[20:21], v[20:21]
	v_cndmask_b32_e64 v9, 0, v1, s[0:1]
	v_cndmask_b32_e32 v8, 0, v22, vcc
	v_mul_f64 v[8:9], v[20:21], v[8:9]
	v_div_scale_f64 v[20:21], s[0:1], v[8:9], v[8:9], v[18:19]
	v_rcp_f64_e32 v[22:23], v[20:21]
	s_mov_b32 s0, 0xfd0a823a
	s_mov_b32 s1, 0x4020a402
	v_fma_f64 v[24:25], -v[20:21], v[22:23], 1.0
	v_fmac_f64_e32 v[22:23], v[22:23], v[24:25]
	v_fma_f64 v[24:25], -v[20:21], v[22:23], 1.0
	v_fmac_f64_e32 v[22:23], v[22:23], v[24:25]
	v_div_scale_f64 v[24:25], vcc, v[18:19], v[8:9], v[18:19]
	v_mul_f64 v[26:27], v[24:25], v[22:23]
	v_fma_f64 v[20:21], -v[20:21], v[26:27], v[24:25]
	s_nop 1
	v_div_fmas_f64 v[20:21], v[20:21], v[22:23], v[26:27]
	v_cmp_nlt_f64_e32 vcc, s[0:1], v[16:17]
	s_andn2_b64 s[0:1], s[12:13], exec
	s_and_b64 s[16:17], vcc, exec
	v_div_fixup_f64 v[8:9], v[20:21], v[8:9], v[18:19]
	s_or_b64 s[0:1], s[0:1], s[16:17]
.LBB7_101:
	s_or_b64 exec, exec, s[14:15]
	s_and_saveexec_b64 s[14:15], s[0:1]
	s_cbranch_execz .LBB7_105
; %bb.102:
	v_mov_b32_e32 v26, 0
	v_mul_f64 v[18:19], v[16:17], v[16:17]
	v_mov_b32_e32 v27, 0x3ff00000
	s_mov_b32 s18, 0
	v_mul_f64 v[20:21], v[16:17], v[18:19]
	s_mov_b64 s[16:17], 0
	s_mov_b32 s19, 0x3cb00000
	v_pk_mov_b32 v[24:25], v[26:27], v[26:27] op_sel:[0,1]
	v_pk_mov_b32 v[22:23], v[16:17], v[16:17] op_sel:[0,1]
	;; [unrolled: 1-line block ×3, first 2 shown]
.LBB7_103:                              ; =>This Inner Loop Header: Depth=1
	v_mul_f64 v[26:27], v[20:21], v[26:27]
	v_add_f64 v[28:29], v[24:25], 1.0
	v_mul_f64 v[16:17], v[20:21], v[16:17]
	v_div_scale_f64 v[30:31], s[0:1], v[28:29], v[28:29], v[26:27]
	v_add_f64 v[34:35], v[28:29], 1.0
	v_rcp_f64_e32 v[36:37], v[30:31]
	v_div_scale_f64 v[38:39], s[0:1], v[34:35], v[34:35], v[16:17]
	v_rcp_f64_e32 v[42:43], v[38:39]
	v_fma_f64 v[44:45], -v[30:31], v[36:37], 1.0
	v_fmac_f64_e32 v[36:37], v[36:37], v[44:45]
	v_fma_f64 v[46:47], -v[30:31], v[36:37], 1.0
	v_fma_f64 v[44:45], -v[38:39], v[42:43], 1.0
	v_fmac_f64_e32 v[42:43], v[42:43], v[44:45]
	v_div_scale_f64 v[32:33], vcc, v[26:27], v[28:29], v[26:27]
	v_fmac_f64_e32 v[36:37], v[36:37], v[46:47]
	v_fma_f64 v[44:45], -v[38:39], v[42:43], 1.0
	v_div_scale_f64 v[40:41], s[0:1], v[16:17], v[34:35], v[16:17]
	v_mul_f64 v[46:47], v[32:33], v[36:37]
	v_fmac_f64_e32 v[42:43], v[42:43], v[44:45]
	v_fma_f64 v[30:31], -v[30:31], v[46:47], v[32:33]
	v_mul_f64 v[32:33], v[40:41], v[42:43]
	v_div_fmas_f64 v[30:31], v[30:31], v[36:37], v[46:47]
	v_fma_f64 v[36:37], -v[38:39], v[32:33], v[40:41]
	s_mov_b64 vcc, s[0:1]
	v_div_fixup_f64 v[26:27], v[30:31], v[28:29], v[26:27]
	v_div_fmas_f64 v[28:29], v[36:37], v[42:43], v[32:33]
	v_div_fixup_f64 v[16:17], v[28:29], v[34:35], v[16:17]
	v_div_scale_f64 v[28:29], s[0:1], v[34:35], v[34:35], v[26:27]
	v_add_f64 v[24:25], v[34:35], 1.0
	v_rcp_f64_e32 v[32:33], v[28:29]
	v_div_scale_f64 v[36:37], s[0:1], v[24:25], v[24:25], v[16:17]
	v_rcp_f64_e32 v[40:41], v[36:37]
	v_fma_f64 v[42:43], -v[28:29], v[32:33], 1.0
	v_fmac_f64_e32 v[32:33], v[32:33], v[42:43]
	v_fma_f64 v[44:45], -v[28:29], v[32:33], 1.0
	v_fma_f64 v[42:43], -v[36:37], v[40:41], 1.0
	v_div_scale_f64 v[30:31], vcc, v[26:27], v[34:35], v[26:27]
	v_fmac_f64_e32 v[40:41], v[40:41], v[42:43]
	v_fmac_f64_e32 v[32:33], v[32:33], v[44:45]
	v_fma_f64 v[42:43], -v[36:37], v[40:41], 1.0
	v_mul_f64 v[44:45], v[30:31], v[32:33]
	v_div_scale_f64 v[38:39], s[0:1], v[16:17], v[24:25], v[16:17]
	v_fmac_f64_e32 v[40:41], v[40:41], v[42:43]
	v_fma_f64 v[28:29], -v[28:29], v[44:45], v[30:31]
	v_mul_f64 v[30:31], v[38:39], v[40:41]
	v_div_fmas_f64 v[28:29], v[28:29], v[32:33], v[44:45]
	v_fma_f64 v[32:33], -v[36:37], v[30:31], v[38:39]
	v_div_fixup_f64 v[26:27], v[28:29], v[34:35], v[26:27]
	s_mov_b64 vcc, s[0:1]
	v_div_fmas_f64 v[28:29], v[32:33], v[40:41], v[30:31]
	v_add_f64 v[18:19], v[18:19], v[26:27]
	v_div_fixup_f64 v[16:17], v[28:29], v[24:25], v[16:17]
	v_div_scale_f64 v[28:29], s[0:1], v[18:19], v[18:19], v[26:27]
	v_rcp_f64_e32 v[30:31], v[28:29]
	v_div_scale_f64 v[32:33], vcc, v[26:27], v[18:19], v[26:27]
	v_add_f64 v[22:23], v[22:23], v[16:17]
	v_fma_f64 v[34:35], -v[28:29], v[30:31], 1.0
	v_fmac_f64_e32 v[30:31], v[30:31], v[34:35]
	v_fma_f64 v[34:35], -v[28:29], v[30:31], 1.0
	v_fmac_f64_e32 v[30:31], v[30:31], v[34:35]
	v_mul_f64 v[34:35], v[32:33], v[30:31]
	v_fma_f64 v[28:29], -v[28:29], v[34:35], v[32:33]
	v_div_fmas_f64 v[28:29], v[28:29], v[30:31], v[34:35]
	v_div_fixup_f64 v[28:29], v[28:29], v[18:19], v[26:27]
	v_cmp_ngt_f64_e64 s[0:1], |v[28:29]|, s[18:19]
	s_or_b64 s[16:17], s[0:1], s[16:17]
	s_andn2_b64 exec, exec, s[16:17]
	s_cbranch_execnz .LBB7_103
; %bb.104:
	s_or_b64 exec, exec, s[16:17]
	s_mov_b32 s0, 0x42b70f8b
	s_mov_b32 s1, 0xbfd0907f
	v_mul_f64 v[16:17], v[22:23], s[0:1]
	s_mov_b32 s0, 0x962715b8
	s_mov_b32 s1, 0x3fd6b8c7
	v_fmac_f64_e32 v[16:17], s[0:1], v[18:19]
	v_cndmask_b32_e64 v9, v9, v17, s[12:13]
	v_cndmask_b32_e64 v8, v8, v16, s[12:13]
.LBB7_105:
	s_or_b64 exec, exec, s[14:15]
                                        ; implicit-def: $vgpr16_vgpr17
.LBB7_106:
	s_andn2_saveexec_b64 s[10:11], s[10:11]
	s_cbranch_execz .LBB7_116
; %bb.107:
	s_mov_b32 s0, 0
	s_brev_b32 s1, 9
	v_cmp_lt_f64_e32 vcc, s[0:1], v[16:17]
	v_cndmask_b32_e64 v1, 0, 1, vcc
	v_lshlrev_b32_e32 v1, 8, v1
	v_ldexp_f64 v[8:9], -v[16:17], v1
	v_rsq_f64_e32 v[18:19], v[8:9]
	v_mov_b32_e32 v1, 0xffffff80
	v_cndmask_b32_e32 v1, 0, v1, vcc
	v_mul_f64 v[16:17], v[16:17], -2.0
	v_mul_f64 v[20:21], v[8:9], v[18:19]
	v_mul_f64 v[18:19], v[18:19], 0.5
	v_fma_f64 v[22:23], -v[18:19], v[20:21], 0.5
	v_fmac_f64_e32 v[20:21], v[20:21], v[22:23]
	v_fma_f64 v[24:25], -v[20:21], v[20:21], v[8:9]
	v_fmac_f64_e32 v[18:19], v[18:19], v[22:23]
	v_fmac_f64_e32 v[20:21], v[24:25], v[18:19]
	v_fma_f64 v[22:23], -v[20:21], v[20:21], v[8:9]
	v_fmac_f64_e32 v[20:21], v[22:23], v[18:19]
	v_ldexp_f64 v[18:19], v[20:21], v1
	v_mov_b32_e32 v1, 0x260
	v_cmp_class_f64_e32 vcc, v[8:9], v1
	v_cndmask_b32_e32 v9, v19, v9, vcc
	v_cndmask_b32_e32 v8, v18, v8, vcc
	s_mov_b32 s12, 0
	v_mul_f64 v[16:17], v[16:17], v[8:9]
	s_mov_b32 s13, 0x40080000
	v_div_scale_f64 v[18:19], s[0:1], s[12:13], s[12:13], v[16:17]
	v_rcp_f64_e32 v[20:21], v[18:19]
	s_mov_b32 s15, 0x3fe921fb
	s_mov_b32 s14, 0x54442d18
	s_movk_i32 s0, 0xff80
	v_fma_f64 v[22:23], -v[18:19], v[20:21], 1.0
	v_fmac_f64_e32 v[20:21], v[20:21], v[22:23]
	v_fma_f64 v[22:23], -v[18:19], v[20:21], 1.0
	v_fmac_f64_e32 v[20:21], v[20:21], v[22:23]
	v_div_scale_f64 v[22:23], vcc, v[16:17], s[12:13], v[16:17]
	v_mul_f64 v[24:25], v[22:23], v[20:21]
	v_fma_f64 v[18:19], -v[18:19], v[24:25], v[22:23]
                                        ; implicit-def: $vgpr3
                                        ; implicit-def: $vgpr26_vgpr27
	s_nop 1
	v_div_fmas_f64 v[18:19], v[18:19], v[20:21], v[24:25]
	v_div_fixup_f64 v[22:23], v[18:19], s[12:13], v[16:17]
	s_mov_b32 s12, 0
	v_add_f64 v[16:17], v[22:23], s[14:15]
	s_mov_b32 s13, 0x41d00000
	v_cmp_nlt_f64_e64 s[12:13], |v[16:17]|, s[12:13]
                                        ; implicit-def: $vgpr24_vgpr25
	s_and_saveexec_b64 s[16:17], s[12:13]
	s_xor_b64 s[16:17], exec, s[16:17]
	s_cbranch_execz .LBB7_109
; %bb.108:
	s_mov_b32 s18, 0
	s_mov_b32 s19, 0x7b000000
	v_and_b32_e32 v1, 0x7fffffff, v17
	v_ldexp_f64 v[24:25], |v[16:17]|, s0
	v_cmp_ge_f64_e64 vcc, |v[16:17]|, s[18:19]
	v_trig_preop_f64 v[18:19], |v[16:17]|, 0
	v_cndmask_b32_e32 v25, v1, v25, vcc
	v_cndmask_b32_e32 v24, v16, v24, vcc
	v_trig_preop_f64 v[20:21], |v[16:17]|, 1
	v_mul_f64 v[28:29], v[18:19], v[24:25]
	v_mul_f64 v[26:27], v[20:21], v[24:25]
	v_fma_f64 v[18:19], v[18:19], v[24:25], -v[28:29]
	v_add_f64 v[30:31], v[26:27], v[18:19]
	v_add_f64 v[32:33], v[28:29], v[30:31]
	s_mov_b32 s0, 0
	v_ldexp_f64 v[34:35], v[32:33], -2
	s_mov_b32 s1, 0x7ff00000
	v_fract_f64_e32 v[36:37], v[34:35]
	v_cmp_neq_f64_e64 vcc, |v[34:35]|, s[0:1]
	v_cndmask_b32_e32 v35, 0, v37, vcc
	v_cndmask_b32_e32 v34, 0, v36, vcc
	v_add_f64 v[36:37], v[30:31], -v[26:27]
	v_add_f64 v[18:19], v[18:19], -v[36:37]
	;; [unrolled: 1-line block ×4, first 2 shown]
	v_fma_f64 v[20:21], v[20:21], v[24:25], -v[26:27]
	v_trig_preop_f64 v[26:27], |v[16:17]|, 2
	v_add_f64 v[18:19], v[18:19], v[36:37]
	v_mul_f64 v[36:37], v[26:27], v[24:25]
	v_add_f64 v[40:41], v[36:37], v[20:21]
	v_add_f64 v[42:43], v[40:41], v[18:19]
	v_add_f64 v[28:29], v[32:33], -v[28:29]
	v_add_f64 v[32:33], v[42:43], -v[40:41]
	;; [unrolled: 1-line block ×5, first 2 shown]
	v_add_f64 v[18:19], v[18:19], v[32:33]
	v_add_f64 v[32:33], v[40:41], -v[36:37]
	v_add_f64 v[20:21], v[20:21], -v[32:33]
	;; [unrolled: 1-line block ×4, first 2 shown]
	v_add_f64 v[20:21], v[20:21], v[32:33]
	v_add_f64 v[28:29], v[30:31], -v[28:29]
	v_add_f64 v[18:19], v[20:21], v[18:19]
	v_fma_f64 v[20:21], v[26:27], v[24:25], -v[36:37]
	v_add_f64 v[30:31], v[28:29], v[42:43]
	v_add_f64 v[18:19], v[20:21], v[18:19]
	v_ldexp_f64 v[20:21], v[34:35], 2
	v_add_f64 v[24:25], v[30:31], v[20:21]
	v_mov_b32_e32 v1, 0x40100000
	v_cmp_gt_f64_e32 vcc, 0, v[24:25]
	v_mov_b32_e32 v38, 0
	v_cndmask_b32_e32 v39, 0, v1, vcc
	v_add_f64 v[20:21], v[20:21], v[38:39]
	v_add_f64 v[24:25], v[30:31], v[20:21]
	v_cvt_i32_f64_e32 v1, v[24:25]
	v_cvt_f64_i32_e32 v[24:25], v1
	v_add_f64 v[20:21], v[20:21], -v[24:25]
	v_add_f64 v[24:25], v[30:31], v[20:21]
	v_add_f64 v[28:29], v[30:31], -v[28:29]
	v_cmp_le_f64_e32 vcc, 0.5, v[24:25]
	v_add_f64 v[28:29], v[42:43], -v[28:29]
	v_add_f64 v[20:21], v[24:25], -v[20:21]
	v_addc_co_u32_e64 v3, s[0:1], 0, v1, vcc
	v_mov_b32_e32 v1, 0x3ff00000
	v_add_f64 v[18:19], v[28:29], v[18:19]
	v_add_f64 v[20:21], v[30:31], -v[20:21]
	v_cndmask_b32_e32 v39, 0, v1, vcc
	v_add_f64 v[18:19], v[18:19], v[20:21]
	v_add_f64 v[20:21], v[24:25], -v[38:39]
	v_add_f64 v[24:25], v[20:21], v[18:19]
	v_add_f64 v[20:21], v[24:25], -v[20:21]
	s_mov_b32 s15, 0x3ff921fb
	v_add_f64 v[18:19], v[18:19], -v[20:21]
	v_mul_f64 v[20:21], v[24:25], s[14:15]
	s_mov_b32 s0, 0x33145c07
	v_fma_f64 v[26:27], v[24:25], s[14:15], -v[20:21]
	s_mov_b32 s1, 0x3c91a626
	v_fmac_f64_e32 v[26:27], s[0:1], v[24:25]
	v_fmac_f64_e32 v[26:27], s[14:15], v[18:19]
	v_add_f64 v[24:25], v[20:21], v[26:27]
	v_add_f64 v[18:19], v[24:25], -v[20:21]
	v_add_f64 v[26:27], v[26:27], -v[18:19]
	s_andn2_saveexec_b64 s[0:1], s[16:17]
	s_cbranch_execz .LBB7_111
	s_branch .LBB7_110
.LBB7_109:
	s_andn2_saveexec_b64 s[0:1], s[16:17]
	s_cbranch_execz .LBB7_111
.LBB7_110:
	s_mov_b32 s14, 0x6dc9c883
	s_mov_b32 s15, 0x3fe45f30
	v_mul_f64 v[18:19], |v[16:17]|, s[14:15]
	s_mov_b32 s14, 0x54442d18
	v_rndne_f64_e32 v[18:19], v[18:19]
	s_mov_b32 s15, 0xbff921fb
	v_fma_f64 v[20:21], v[18:19], s[14:15], |v[16:17]|
	s_mov_b32 s15, 0xbc91a626
	s_mov_b32 s14, 0x33145c00
	v_mul_f64 v[24:25], v[18:19], s[14:15]
	v_add_f64 v[30:31], v[20:21], v[24:25]
	v_fma_f64 v[26:27], s[14:15], v[18:19], v[20:21]
	s_mov_b32 s15, 0x3c91a626
	v_add_f64 v[20:21], v[20:21], -v[30:31]
	v_fma_f64 v[28:29], s[14:15], v[18:19], v[24:25]
	v_add_f64 v[20:21], v[20:21], v[24:25]
	v_add_f64 v[24:25], v[30:31], -v[26:27]
	v_add_f64 v[20:21], v[24:25], v[20:21]
	s_mov_b32 s14, 0x252049c0
	v_add_f64 v[20:21], v[20:21], -v[28:29]
	s_mov_b32 s15, 0xb97b839a
	v_fmac_f64_e32 v[20:21], s[14:15], v[18:19]
	v_add_f64 v[24:25], v[26:27], v[20:21]
	v_add_f64 v[26:27], v[24:25], -v[26:27]
	v_add_f64 v[26:27], v[20:21], -v[26:27]
	v_cvt_i32_f64_e32 v3, v[18:19]
.LBB7_111:
	s_or_b64 exec, exec, s[0:1]
                                        ; implicit-def: $vgpr1
                                        ; implicit-def: $vgpr18_vgpr19
                                        ; implicit-def: $vgpr20_vgpr21
	s_and_saveexec_b64 s[0:1], s[12:13]
	s_xor_b64 s[12:13], exec, s[0:1]
	s_cbranch_execz .LBB7_113
; %bb.112:
	s_mov_b32 s0, 0
	s_mov_b32 s1, 0x7b000000
	s_movk_i32 s14, 0xff80
	v_and_b32_e32 v1, 0x7fffffff, v17
	v_ldexp_f64 v[28:29], |v[16:17]|, s14
	v_cmp_ge_f64_e64 vcc, |v[16:17]|, s[0:1]
	v_trig_preop_f64 v[18:19], |v[16:17]|, 0
	v_cndmask_b32_e32 v29, v1, v29, vcc
	v_cndmask_b32_e32 v28, v16, v28, vcc
	v_trig_preop_f64 v[20:21], |v[16:17]|, 1
	v_mul_f64 v[32:33], v[18:19], v[28:29]
	v_mul_f64 v[30:31], v[20:21], v[28:29]
	v_fma_f64 v[18:19], v[18:19], v[28:29], -v[32:33]
	v_add_f64 v[34:35], v[30:31], v[18:19]
	v_add_f64 v[36:37], v[32:33], v[34:35]
	s_mov_b32 s0, 0
	v_ldexp_f64 v[38:39], v[36:37], -2
	s_mov_b32 s1, 0x7ff00000
	v_fract_f64_e32 v[40:41], v[38:39]
	v_cmp_neq_f64_e64 vcc, |v[38:39]|, s[0:1]
	v_cndmask_b32_e32 v39, 0, v41, vcc
	v_cndmask_b32_e32 v38, 0, v40, vcc
	v_add_f64 v[40:41], v[34:35], -v[30:31]
	v_add_f64 v[18:19], v[18:19], -v[40:41]
	;; [unrolled: 1-line block ×4, first 2 shown]
	v_fma_f64 v[20:21], v[20:21], v[28:29], -v[30:31]
	v_trig_preop_f64 v[30:31], |v[16:17]|, 2
	v_add_f64 v[18:19], v[18:19], v[40:41]
	v_mul_f64 v[40:41], v[30:31], v[28:29]
	v_add_f64 v[44:45], v[40:41], v[20:21]
	v_add_f64 v[46:47], v[44:45], v[18:19]
	v_add_f64 v[32:33], v[36:37], -v[32:33]
	v_add_f64 v[36:37], v[46:47], -v[44:45]
	;; [unrolled: 1-line block ×5, first 2 shown]
	v_add_f64 v[18:19], v[18:19], v[36:37]
	v_add_f64 v[36:37], v[44:45], -v[40:41]
	v_add_f64 v[20:21], v[20:21], -v[36:37]
	;; [unrolled: 1-line block ×4, first 2 shown]
	v_add_f64 v[20:21], v[20:21], v[36:37]
	v_add_f64 v[32:33], v[34:35], -v[32:33]
	v_add_f64 v[18:19], v[20:21], v[18:19]
	v_fma_f64 v[20:21], v[30:31], v[28:29], -v[40:41]
	v_add_f64 v[34:35], v[32:33], v[46:47]
	v_add_f64 v[18:19], v[20:21], v[18:19]
	v_ldexp_f64 v[20:21], v[38:39], 2
	v_add_f64 v[28:29], v[34:35], v[20:21]
	v_mov_b32_e32 v1, 0x40100000
	v_cmp_gt_f64_e32 vcc, 0, v[28:29]
	v_mov_b32_e32 v42, 0
	v_cndmask_b32_e32 v43, 0, v1, vcc
	v_add_f64 v[20:21], v[20:21], v[42:43]
	v_add_f64 v[28:29], v[34:35], v[20:21]
	v_cvt_i32_f64_e32 v1, v[28:29]
	v_cvt_f64_i32_e32 v[28:29], v1
	v_add_f64 v[20:21], v[20:21], -v[28:29]
	v_add_f64 v[32:33], v[34:35], -v[32:33]
	v_add_f64 v[28:29], v[34:35], v[20:21]
	v_add_f64 v[32:33], v[46:47], -v[32:33]
	v_add_f64 v[20:21], v[28:29], -v[20:21]
	v_cmp_le_f64_e32 vcc, 0.5, v[28:29]
	v_mov_b32_e32 v5, 0x3ff00000
	v_add_f64 v[18:19], v[32:33], v[18:19]
	v_add_f64 v[20:21], v[34:35], -v[20:21]
	v_cndmask_b32_e32 v43, 0, v5, vcc
	v_add_f64 v[18:19], v[18:19], v[20:21]
	v_addc_co_u32_e64 v1, s[0:1], 0, v1, vcc
	v_add_f64 v[20:21], v[28:29], -v[42:43]
	v_add_f64 v[28:29], v[20:21], v[18:19]
	s_mov_b32 s0, 0x54442d18
	v_add_f64 v[20:21], v[28:29], -v[20:21]
	s_mov_b32 s1, 0x3ff921fb
	v_add_f64 v[18:19], v[18:19], -v[20:21]
	v_mul_f64 v[20:21], v[28:29], s[0:1]
	s_mov_b32 s14, 0x33145c07
	v_fma_f64 v[30:31], v[28:29], s[0:1], -v[20:21]
	s_mov_b32 s15, 0x3c91a626
	v_fmac_f64_e32 v[30:31], s[14:15], v[28:29]
	v_fmac_f64_e32 v[30:31], s[0:1], v[18:19]
	v_add_f64 v[18:19], v[20:21], v[30:31]
	v_add_f64 v[20:21], v[18:19], -v[20:21]
	v_add_f64 v[20:21], v[30:31], -v[20:21]
	s_andn2_saveexec_b64 s[0:1], s[12:13]
	s_cbranch_execnz .LBB7_114
	s_branch .LBB7_115
.LBB7_113:
	s_andn2_saveexec_b64 s[0:1], s[12:13]
	s_cbranch_execz .LBB7_115
.LBB7_114:
	s_mov_b32 s12, 0x6dc9c883
	s_mov_b32 s13, 0x3fe45f30
	v_mul_f64 v[18:19], |v[16:17]|, s[12:13]
	s_mov_b32 s12, 0x54442d18
	v_rndne_f64_e32 v[28:29], v[18:19]
	s_mov_b32 s13, 0xbff921fb
	v_fma_f64 v[18:19], v[28:29], s[12:13], |v[16:17]|
	s_mov_b32 s13, 0xbc91a626
	s_mov_b32 s12, 0x33145c00
	v_mul_f64 v[30:31], v[28:29], s[12:13]
	v_add_f64 v[34:35], v[18:19], v[30:31]
	v_fma_f64 v[20:21], s[12:13], v[28:29], v[18:19]
	s_mov_b32 s13, 0x3c91a626
	v_add_f64 v[18:19], v[18:19], -v[34:35]
	v_fma_f64 v[32:33], s[12:13], v[28:29], v[30:31]
	v_add_f64 v[18:19], v[18:19], v[30:31]
	v_add_f64 v[30:31], v[34:35], -v[20:21]
	v_add_f64 v[18:19], v[30:31], v[18:19]
	s_mov_b32 s12, 0x252049c0
	v_add_f64 v[30:31], v[18:19], -v[32:33]
	s_mov_b32 s13, 0xb97b839a
	v_fmac_f64_e32 v[30:31], s[12:13], v[28:29]
	v_add_f64 v[18:19], v[20:21], v[30:31]
	v_add_f64 v[20:21], v[18:19], -v[20:21]
	v_add_f64 v[20:21], v[30:31], -v[20:21]
	v_cvt_i32_f64_e32 v1, v[28:29]
.LBB7_115:
	s_or_b64 exec, exec, s[0:1]
	v_div_scale_f64 v[28:29], s[0:1], v[22:23], v[22:23], 1.0
	v_rcp_f64_e32 v[30:31], v[28:29]
	v_div_scale_f64 v[32:33], vcc, 1.0, v[22:23], 1.0
	v_mov_b32_e32 v36, 0xaf76e73b
	v_fma_f64 v[34:35], -v[28:29], v[30:31], 1.0
	v_fmac_f64_e32 v[30:31], v[30:31], v[34:35]
	v_fma_f64 v[34:35], -v[28:29], v[30:31], 1.0
	v_fmac_f64_e32 v[30:31], v[30:31], v[34:35]
	v_mul_f64 v[34:35], v[32:33], v[30:31]
	v_fma_f64 v[28:29], -v[28:29], v[34:35], v[32:33]
	v_div_fmas_f64 v[28:29], v[28:29], v[30:31], v[34:35]
	v_div_fixup_f64 v[22:23], v[28:29], v[22:23], 1.0
	v_mul_f64 v[28:29], v[22:23], v[22:23]
	v_mov_b32_e32 v30, 0xd50ae6fb
	v_mov_b32_e32 v31, 0xbfc0db6c
	v_fmac_f64_e32 v[30:31], 0, v[28:29]
	v_mov_b32_e32 v32, 0x98566852
	v_mov_b32_e32 v33, 0xbfe40bee
	v_fmac_f64_e32 v[32:33], v[28:29], v[30:31]
	;; [unrolled: 3-line block ×15, first 2 shown]
	v_mov_b32_e32 v37, 0x3f13c8d7
	v_fmac_f64_e32 v[36:37], v[28:29], v[30:31]
	v_mov_b32_e32 v34, 0xb99518a7
	v_mov_b32_e32 v35, 0x3e9e52b9
	v_mul_f64 v[38:39], v[24:25], v[24:25]
	v_fmac_f64_e32 v[34:35], v[28:29], v[36:37]
	v_mov_b32_e32 v36, 0xf68ea2d2
	v_mov_b32_e32 v37, 0xbe52041c
	v_mul_f64 v[30:31], v[38:39], 0.5
	v_fmac_f64_e32 v[36:37], v[28:29], v[32:33]
	v_add_f64 v[32:33], -v[30:31], 1.0
	s_mov_b32 s0, 0x9037ab78
	v_add_f64 v[40:41], -v[32:33], 1.0
	s_mov_b32 s1, 0x3e21eeb6
	s_mov_b32 s12, 0x46cc5e42
	v_add_f64 v[40:41], v[40:41], -v[30:31]
	s_mov_b32 s13, 0xbda907db
	v_pk_mov_b32 v[30:31], s[0:1], s[0:1] op_sel:[0,1]
	s_mov_b32 s14, 0xa17f65f6
	v_fma_f64 v[44:45], s[12:13], v[38:39], v[30:31]
	s_mov_b32 s15, 0xbe927e4f
	s_mov_b32 s16, 0x19f4ec90
	v_fma_f64 v[44:45], v[38:39], v[44:45], s[14:15]
	s_mov_b32 s17, 0x3efa01a0
	;; [unrolled: 3-line block ×4, first 2 shown]
	v_mul_f64 v[42:43], v[38:39], v[38:39]
	v_fma_f64 v[44:45], v[38:39], v[44:45], s[20:21]
	v_fma_f64 v[40:41], v[24:25], -v[26:27], v[40:41]
	s_mov_b32 s0, 0xb42fdfa7
	v_fmac_f64_e32 v[40:41], v[42:43], v[44:45]
	s_mov_b32 s1, 0xbe5ae600
	s_mov_b32 s22, 0xf9a43bb8
	v_add_f64 v[40:41], v[32:33], v[40:41]
	s_mov_b32 s23, 0x3de5e0b2
	v_pk_mov_b32 v[32:33], s[0:1], s[0:1] op_sel:[0,1]
	s_mov_b32 s24, 0x796cde01
	v_fma_f64 v[42:43], s[22:23], v[38:39], v[32:33]
	s_mov_b32 s25, 0x3ec71de3
	s_mov_b32 s26, 0x19e83e5c
	v_fma_f64 v[42:43], v[38:39], v[42:43], s[24:25]
	s_mov_b32 s27, 0xbf2a01a0
	;; [unrolled: 3-line block ×3, first 2 shown]
	v_fma_f64 v[42:43], v[38:39], v[42:43], s[28:29]
	v_mul_f64 v[44:45], v[24:25], -v[38:39]
	v_mul_f64 v[46:47], v[26:27], 0.5
	v_fmac_f64_e32 v[46:47], v[44:45], v[42:43]
	v_fma_f64 v[26:27], v[38:39], v[46:47], -v[26:27]
	s_mov_b32 s31, 0xbfc55555
	s_mov_b32 s30, s20
	v_fmac_f64_e32 v[26:27], s[30:31], v[44:45]
	v_and_b32_e32 v5, 1, v3
	v_add_f64 v[24:25], v[24:25], -v[26:27]
	v_cmp_eq_u32_e32 vcc, 0, v5
	v_cndmask_b32_e32 v5, v40, v24, vcc
	v_cndmask_b32_e32 v7, v41, v25, vcc
	v_mul_f64 v[24:25], v[28:29], v[36:37]
	v_div_scale_f64 v[26:27], s[0:1], v[34:35], v[34:35], v[24:25]
	v_rcp_f64_e32 v[36:37], v[26:27]
	v_lshlrev_b32_e32 v3, 30, v3
	v_xor_b32_e32 v3, v3, v17
	s_movk_i32 s33, 0x1f8
	v_fma_f64 v[38:39], -v[26:27], v[36:37], 1.0
	v_fmac_f64_e32 v[36:37], v[36:37], v[38:39]
	v_fma_f64 v[38:39], -v[26:27], v[36:37], 1.0
	v_fmac_f64_e32 v[36:37], v[36:37], v[38:39]
	v_div_scale_f64 v[38:39], vcc, v[24:25], v[34:35], v[24:25]
	v_mul_f64 v[40:41], v[38:39], v[36:37]
	v_fma_f64 v[26:27], -v[26:27], v[40:41], v[38:39]
	s_mov_b32 s34, 0
	s_nop 0
	v_div_fmas_f64 v[26:27], v[26:27], v[36:37], v[40:41]
	v_div_fixup_f64 v[24:25], v[26:27], v[34:35], v[24:25]
	v_mov_b32_e32 v26, 0xddcfbbde
	v_mov_b32_e32 v27, 0x3f943525
	v_fmac_f64_e32 v[26:27], 0, v[28:29]
	v_mov_b32_e32 v34, 0x6437b7
	v_mov_b32_e32 v35, 0x3fd907d5
	v_fmac_f64_e32 v[34:35], v[28:29], v[26:27]
	;; [unrolled: 3-line block ×13, first 2 shown]
	v_mov_b32_e32 v34, 0x7ea7dc35
	v_mov_b32_e32 v35, 0x402f211b
	v_and_b32_e32 v3, 0x80000000, v3
	v_cmp_class_f64_e64 s[0:1], v[16:17], s33
	v_fmac_f64_e32 v[34:35], v[28:29], v[36:37]
	v_mov_b32_e32 v36, 0x2b79dbce
	v_mov_b32_e32 v37, 0x4015e84e
	s_brev_b32 s35, 8
	v_xor_b32_e32 v3, v7, v3
	v_cndmask_b32_e64 v16, 0, v5, s[0:1]
	v_mov_b32_e32 v5, 0x7ff80000
	v_fmac_f64_e32 v[36:37], v[28:29], v[34:35]
	v_mov_b32_e32 v34, 0xc195ece3
	v_mov_b32_e32 v35, 0x3fee8992
	v_cmp_gt_f64_e32 vcc, s[34:35], v[8:9]
	v_cndmask_b32_e64 v17, v5, v3, s[0:1]
	v_fmac_f64_e32 v[34:35], v[28:29], v[36:37]
	v_mov_b32_e32 v36, 0xed64a9ee
	v_mov_b32_e32 v37, 0x3fb6221d
	v_cndmask_b32_e64 v3, 0, 1, vcc
	v_fmac_f64_e32 v[36:37], v[28:29], v[34:35]
	v_mov_b32_e32 v34, 0x6be393bb
	v_mov_b32_e32 v35, 0x3f70e704
	v_lshlrev_b32_e32 v3, 8, v3
	v_fmac_f64_e32 v[34:35], v[28:29], v[36:37]
	v_mov_b32_e32 v36, 0xd603a5a0
	v_mov_b32_e32 v37, 0x3f1a8b61
	v_ldexp_f64 v[8:9], v[8:9], v3
	v_fmac_f64_e32 v[36:37], v[28:29], v[34:35]
	v_rsq_f64_e32 v[34:35], v[8:9]
	v_mov_b32_e32 v38, 0xdb0724e8
	v_mov_b32_e32 v39, 0x3eb3a845
	v_fmac_f64_e32 v[38:39], v[28:29], v[36:37]
	v_mul_f64 v[36:37], v[8:9], v[34:35]
	v_mul_f64 v[34:35], v[34:35], 0.5
	v_fma_f64 v[40:41], -v[34:35], v[36:37], 0.5
	v_fmac_f64_e32 v[36:37], v[36:37], v[40:41]
	v_fma_f64 v[42:43], -v[36:37], v[36:37], v[8:9]
	v_fmac_f64_e32 v[34:35], v[34:35], v[40:41]
	v_fmac_f64_e32 v[36:37], v[42:43], v[34:35]
	v_fma_f64 v[40:41], -v[36:37], v[36:37], v[8:9]
	v_mov_b32_e32 v3, 0xffffff80
	v_fmac_f64_e32 v[36:37], v[40:41], v[34:35]
	v_cndmask_b32_e32 v3, 0, v3, vcc
	v_ldexp_f64 v[34:35], v[36:37], v3
	v_mov_b32_e32 v3, 0x260
	v_cmp_class_f64_e32 vcc, v[8:9], v3
	s_mov_b32 s34, 0x50429b6d
	v_cndmask_b32_e32 v9, v35, v9, vcc
	v_cndmask_b32_e32 v8, v34, v8, vcc
	s_mov_b32 s35, 0x3fe20dd7
	v_div_scale_f64 v[34:35], s[36:37], v[8:9], v[8:9], s[34:35]
	v_rcp_f64_e32 v[36:37], v[34:35]
	v_mov_b32_e32 v40, 0x3dd589d4
	v_mov_b32_e32 v41, 0x3e351fc7
	v_fmac_f64_e32 v[40:41], v[28:29], v[38:39]
	v_fma_f64 v[28:29], -v[34:35], v[36:37], 1.0
	v_fmac_f64_e32 v[36:37], v[36:37], v[28:29]
	v_fma_f64 v[28:29], -v[34:35], v[36:37], 1.0
	v_fmac_f64_e32 v[36:37], v[36:37], v[28:29]
	v_div_scale_f64 v[28:29], vcc, s[34:35], v[8:9], s[34:35]
	v_mul_f64 v[38:39], v[28:29], v[36:37]
	v_fma_f64 v[28:29], -v[34:35], v[38:39], v[28:29]
	v_and_b32_e32 v7, 1, v1
	s_nop 0
	v_div_fmas_f64 v[28:29], v[28:29], v[36:37], v[38:39]
	v_div_fixup_f64 v[8:9], v[28:29], v[8:9], s[34:35]
	v_mul_f64 v[28:29], v[18:19], v[18:19]
	v_mul_f64 v[34:35], v[28:29], 0.5
	v_fmac_f64_e32 v[30:31], s[12:13], v[28:29]
	v_add_f64 v[36:37], -v[34:35], 1.0
	v_fma_f64 v[30:31], v[28:29], v[30:31], s[14:15]
	v_add_f64 v[38:39], -v[36:37], 1.0
	v_fma_f64 v[30:31], v[28:29], v[30:31], s[16:17]
	v_add_f64 v[34:35], v[38:39], -v[34:35]
	v_fma_f64 v[30:31], v[28:29], v[30:31], s[18:19]
	v_fmac_f64_e32 v[32:33], s[22:23], v[28:29]
	v_mul_f64 v[38:39], v[28:29], v[28:29]
	v_fma_f64 v[30:31], v[28:29], v[30:31], s[20:21]
	v_fma_f64 v[34:35], v[18:19], -v[20:21], v[34:35]
	v_fma_f64 v[32:33], v[28:29], v[32:33], s[24:25]
	v_fmac_f64_e32 v[34:35], v[38:39], v[30:31]
	v_fma_f64 v[32:33], v[28:29], v[32:33], s[26:27]
	v_add_f64 v[30:31], v[36:37], v[34:35]
	v_fma_f64 v[32:33], v[28:29], v[32:33], s[28:29]
	v_mul_f64 v[34:35], v[18:19], -v[28:29]
	v_mul_f64 v[36:37], v[20:21], 0.5
	v_fmac_f64_e32 v[36:37], v[34:35], v[32:33]
	v_fma_f64 v[20:21], v[28:29], v[36:37], -v[20:21]
	v_fmac_f64_e32 v[20:21], s[30:31], v[34:35]
	v_add_f64 v[18:19], v[18:19], -v[20:21]
	v_cmp_eq_u32_e32 vcc, 0, v7
	v_xor_b32_e32 v3, 0x80000000, v19
	v_cndmask_b32_e32 v7, v18, v30, vcc
	v_mul_f64 v[18:19], v[22:23], v[26:27]
	v_div_scale_f64 v[20:21], s[12:13], v[40:41], v[40:41], v[18:19]
	v_rcp_f64_e32 v[22:23], v[20:21]
	v_cndmask_b32_e32 v3, v3, v31, vcc
	v_lshlrev_b32_e32 v1, 30, v1
	v_and_b32_e32 v1, 0x80000000, v1
	v_fma_f64 v[28:29], -v[20:21], v[22:23], 1.0
	v_fmac_f64_e32 v[22:23], v[22:23], v[28:29]
	v_fma_f64 v[28:29], -v[20:21], v[22:23], 1.0
	v_fmac_f64_e32 v[22:23], v[22:23], v[28:29]
	v_div_scale_f64 v[28:29], vcc, v[18:19], v[40:41], v[18:19]
	v_mul_f64 v[30:31], v[28:29], v[22:23]
	v_fma_f64 v[20:21], -v[20:21], v[30:31], v[28:29]
	v_xor_b32_e32 v1, v3, v1
	s_nop 0
	v_div_fmas_f64 v[20:21], v[20:21], v[22:23], v[30:31]
	v_cndmask_b32_e64 v26, 0, v7, s[0:1]
	v_cndmask_b32_e64 v27, v5, v1, s[0:1]
	v_div_fixup_f64 v[18:19], v[20:21], v[40:41], v[18:19]
	v_add_f64 v[24:25], v[24:25], 1.0
	v_mul_f64 v[18:19], v[18:19], v[26:27]
	v_fma_f64 v[16:17], v[24:25], v[16:17], -v[18:19]
	v_mul_f64 v[8:9], v[8:9], v[16:17]
.LBB7_116:
	s_or_b64 exec, exec, s[10:11]
.LBB7_117:
	s_or_b64 exec, exec, s[8:9]
.LBB7_118:
	s_or_b64 exec, exec, s[2:3]
	global_load_dwordx2 v[18:19], v14, s[6:7]
	s_mov_b32 s2, 0
	v_mov_b32_e32 v14, 0
	s_mov_b32 s3, 0x7ff00000
	v_mov_b32_e32 v15, 0x7ff80000
	v_pk_mov_b32 v[16:17], v[14:15], v[14:15] op_sel:[0,1]
	s_waitcnt vmcnt(0)
	v_cmp_neq_f64_e64 s[0:1], |v[18:19]|, s[2:3]
	s_and_saveexec_b64 s[8:9], s[0:1]
	s_cbranch_execz .LBB7_140
; %bb.119:
	s_mov_b32 s0, 0x872b020c
	s_mov_b32 s1, 0x4059f916
	v_cmp_nlt_f64_e32 vcc, s[0:1], v[18:19]
	v_pk_mov_b32 v[16:17], 0, 0
	s_and_saveexec_b64 s[10:11], vcc
	s_cbranch_execz .LBB7_139
; %bb.120:
	s_mov_b32 s1, 0xc000b851
	s_mov_b32 s0, 0xeb851eb8
	v_cmp_ngt_f64_e32 vcc, s[0:1], v[18:19]
                                        ; implicit-def: $vgpr16_vgpr17
	s_and_saveexec_b64 s[12:13], vcc
	s_xor_b64 s[12:13], exec, s[12:13]
	s_cbranch_execz .LBB7_128
; %bb.121:
	s_mov_b32 s1, 0x4000b851
	v_cmp_nle_f64_e64 s[14:15], s[0:1], v[18:19]
	v_cmp_le_f64_e32 vcc, s[0:1], v[18:19]
	v_pk_mov_b32 v[16:17], 0, 0
	s_mov_b64 s[0:1], s[14:15]
	s_and_saveexec_b64 s[16:17], vcc
	s_cbranch_execz .LBB7_123
; %bb.122:
	s_mov_b32 s0, 0
	s_brev_b32 s1, 8
	v_cmp_gt_f64_e32 vcc, s[0:1], v[18:19]
	v_cndmask_b32_e64 v1, 0, 1, vcc
	v_lshlrev_b32_e32 v1, 8, v1
	v_ldexp_f64 v[16:17], v[18:19], v1
	v_rsq_f64_e32 v[20:21], v[16:17]
	v_mov_b32_e32 v1, 0xffffff80
	v_cndmask_b32_e32 v3, 0, v1, vcc
	v_add_f64 v[22:23], v[18:19], v[18:19]
	v_mul_f64 v[24:25], v[16:17], v[20:21]
	v_mul_f64 v[20:21], v[20:21], 0.5
	v_fma_f64 v[26:27], -v[20:21], v[24:25], 0.5
	v_fmac_f64_e32 v[24:25], v[24:25], v[26:27]
	v_fma_f64 v[28:29], -v[24:25], v[24:25], v[16:17]
	v_fmac_f64_e32 v[20:21], v[20:21], v[26:27]
	v_fmac_f64_e32 v[24:25], v[28:29], v[20:21]
	v_fma_f64 v[26:27], -v[24:25], v[24:25], v[16:17]
	v_fmac_f64_e32 v[24:25], v[26:27], v[20:21]
	v_ldexp_f64 v[20:21], v[24:25], v3
	v_mov_b32_e32 v3, 0x260
	v_cmp_class_f64_e32 vcc, v[16:17], v3
	v_cndmask_b32_e32 v21, v21, v17, vcc
	v_cndmask_b32_e32 v20, v20, v16, vcc
	s_mov_b32 s18, 0
	v_mul_f64 v[16:17], v[22:23], v[20:21]
	s_mov_b32 s19, 0x40080000
	v_div_scale_f64 v[22:23], s[20:21], s[18:19], s[18:19], v[16:17]
	v_rcp_f64_e32 v[24:25], v[22:23]
	v_fma_f64 v[26:27], -v[22:23], v[24:25], 1.0
	v_fmac_f64_e32 v[24:25], v[24:25], v[26:27]
	v_fma_f64 v[26:27], -v[22:23], v[24:25], 1.0
	v_fmac_f64_e32 v[24:25], v[24:25], v[26:27]
	v_div_scale_f64 v[26:27], vcc, v[16:17], s[18:19], v[16:17]
	v_mul_f64 v[28:29], v[26:27], v[24:25]
	v_fma_f64 v[22:23], -v[22:23], v[28:29], v[26:27]
	s_nop 1
	v_div_fmas_f64 v[22:23], v[22:23], v[24:25], v[28:29]
	v_div_fixup_f64 v[16:17], v[22:23], s[18:19], v[16:17]
	v_div_scale_f64 v[22:23], s[18:19], v[16:17], v[16:17], 1.0
	v_rcp_f64_e32 v[24:25], v[22:23]
	v_fma_f64 v[26:27], -v[22:23], v[24:25], 1.0
	v_fmac_f64_e32 v[24:25], v[24:25], v[26:27]
	v_fma_f64 v[26:27], -v[22:23], v[24:25], 1.0
	v_fmac_f64_e32 v[24:25], v[24:25], v[26:27]
	v_div_scale_f64 v[26:27], vcc, 1.0, v[16:17], 1.0
	v_mul_f64 v[28:29], v[26:27], v[24:25]
	v_fma_f64 v[22:23], -v[22:23], v[28:29], v[26:27]
	v_mov_b32_e32 v26, 0x871a9067
	s_nop 0
	v_div_fmas_f64 v[22:23], v[22:23], v[24:25], v[28:29]
	v_div_fixup_f64 v[22:23], v[22:23], v[16:17], 1.0
	v_mov_b32_e32 v24, 0x2537b658
	v_mov_b32_e32 v25, 0x3fd62dae
	v_fmac_f64_e32 v[24:25], 0, v[22:23]
	v_mov_b32_e32 v27, 0x402803e3
	v_fmac_f64_e32 v[26:27], v[22:23], v[24:25]
	v_mov_b32_e32 v24, 0xde2e1e3
	v_mov_b32_e32 v25, 0x405311e5
	v_fmac_f64_e32 v[24:25], v[22:23], v[26:27]
	v_mov_b32_e32 v26, 0xee40073c
	;; [unrolled: 3-line block ×12, first 2 shown]
	v_mov_b32_e32 v27, 0x402c311b
	v_fmac_f64_e32 v[26:27], v[22:23], v[28:29]
	v_fma_f64 v[26:27], v[22:23], v[26:27], 1.0
	v_fma_f64 v[22:23], v[22:23], v[24:25], 1.0
	v_div_scale_f64 v[24:25], s[18:19], v[26:27], v[26:27], v[22:23]
	v_rcp_f64_e32 v[28:29], v[24:25]
	v_fma_f64 v[30:31], -v[24:25], v[28:29], 1.0
	v_fmac_f64_e32 v[28:29], v[28:29], v[30:31]
	v_fma_f64 v[30:31], -v[24:25], v[28:29], 1.0
	v_fmac_f64_e32 v[28:29], v[28:29], v[30:31]
	v_div_scale_f64 v[30:31], vcc, v[22:23], v[26:27], v[22:23]
	v_mul_f64 v[32:33], v[30:31], v[28:29]
	v_fma_f64 v[24:25], -v[24:25], v[32:33], v[30:31]
	s_nop 1
	v_div_fmas_f64 v[24:25], v[24:25], v[28:29], v[32:33]
	v_cmp_gt_f64_e32 vcc, s[0:1], v[20:21]
	v_cndmask_b32_e64 v5, 0, 1, vcc
	v_lshlrev_b32_e32 v5, 8, v5
	v_div_fixup_f64 v[22:23], v[24:25], v[26:27], v[22:23]
	v_ldexp_f64 v[24:25], v[20:21], v5
	v_rsq_f64_e32 v[26:27], v[24:25]
	s_mov_b32 s0, 0x50429b6d
	s_mov_b32 s1, 0x3fe20dd7
	v_mul_f64 v[20:21], v[22:23], s[0:1]
	v_mul_f64 v[22:23], v[24:25], v[26:27]
	v_mul_f64 v[26:27], v[26:27], 0.5
	v_fma_f64 v[28:29], -v[26:27], v[22:23], 0.5
	v_fmac_f64_e32 v[22:23], v[22:23], v[28:29]
	v_fma_f64 v[30:31], -v[22:23], v[22:23], v[24:25]
	v_fmac_f64_e32 v[26:27], v[26:27], v[28:29]
	v_fmac_f64_e32 v[22:23], v[30:31], v[26:27]
	v_fma_f64 v[28:29], -v[22:23], v[22:23], v[24:25]
	v_fmac_f64_e32 v[22:23], v[28:29], v[26:27]
	v_cndmask_b32_e32 v1, 0, v1, vcc
	s_mov_b32 s0, 0x652b82fe
	v_ldexp_f64 v[22:23], v[22:23], v1
	v_cmp_class_f64_e32 vcc, v[24:25], v3
	s_mov_b32 s1, 0x3ff71547
	v_cndmask_b32_e32 v23, v23, v25, vcc
	v_cndmask_b32_e32 v22, v22, v24, vcc
	v_mul_f64 v[24:25], v[16:17], s[0:1]
	s_mov_b32 s0, 0xfefa39ef
	v_rndne_f64_e32 v[24:25], v[24:25]
	s_mov_b32 s1, 0xbfe62e42
	v_fma_f64 v[26:27], s[0:1], v[24:25], v[16:17]
	s_mov_b32 s0, 0x3b39803f
	s_mov_b32 s1, 0xbc7abc9e
	v_fmac_f64_e32 v[26:27], s[0:1], v[24:25]
	s_mov_b32 s0, 0x6a5dcb37
	v_mov_b32_e32 v28, 0xfca7ab0c
	v_mov_b32_e32 v29, 0x3e928af3
	s_mov_b32 s1, 0x3e5ade15
	v_fmac_f64_e32 v[28:29], s[0:1], v[26:27]
	v_mov_b32_e32 v30, 0x623fde64
	v_mov_b32_e32 v31, 0x3ec71dee
	v_fmac_f64_e32 v[30:31], v[26:27], v[28:29]
	v_mov_b32_e32 v28, 0x7c89e6b0
	v_mov_b32_e32 v29, 0x3efa0199
	;; [unrolled: 3-line block ×8, first 2 shown]
	s_mov_b32 s0, 0
	v_fmac_f64_e32 v[28:29], v[26:27], v[30:31]
	s_mov_b32 s1, 0x40900000
	v_fma_f64 v[28:29], v[26:27], v[28:29], 1.0
	v_cmp_nlt_f64_e32 vcc, s[0:1], v[16:17]
	s_mov_b32 s0, 0
	v_fma_f64 v[26:27], v[26:27], v[28:29], 1.0
	v_cvt_i32_f64_e32 v1, v[24:25]
	s_mov_b32 s1, 0xc090cc00
	v_ldexp_f64 v[24:25], v[26:27], v1
	v_mov_b32_e32 v1, 0x7ff00000
	v_cmp_ngt_f64_e64 s[0:1], s[0:1], v[16:17]
	v_cndmask_b32_e32 v1, v1, v25, vcc
	s_and_b64 vcc, s[0:1], vcc
	v_add_f64 v[22:23], v[22:23], v[22:23]
	v_cndmask_b32_e64 v17, 0, v1, s[0:1]
	v_cndmask_b32_e32 v16, 0, v24, vcc
	v_mul_f64 v[16:17], v[22:23], v[16:17]
	v_div_scale_f64 v[22:23], s[0:1], v[16:17], v[16:17], v[20:21]
	v_rcp_f64_e32 v[24:25], v[22:23]
	s_mov_b32 s0, 0xfd0a823a
	s_mov_b32 s1, 0x4020a402
	v_fma_f64 v[26:27], -v[22:23], v[24:25], 1.0
	v_fmac_f64_e32 v[24:25], v[24:25], v[26:27]
	v_fma_f64 v[26:27], -v[22:23], v[24:25], 1.0
	v_fmac_f64_e32 v[24:25], v[24:25], v[26:27]
	v_div_scale_f64 v[26:27], vcc, v[20:21], v[16:17], v[20:21]
	v_mul_f64 v[28:29], v[26:27], v[24:25]
	v_fma_f64 v[22:23], -v[22:23], v[28:29], v[26:27]
	s_nop 1
	v_div_fmas_f64 v[22:23], v[22:23], v[24:25], v[28:29]
	v_cmp_nlt_f64_e32 vcc, s[0:1], v[18:19]
	s_andn2_b64 s[0:1], s[14:15], exec
	s_and_b64 s[18:19], vcc, exec
	v_div_fixup_f64 v[16:17], v[22:23], v[16:17], v[20:21]
	s_or_b64 s[0:1], s[0:1], s[18:19]
.LBB7_123:
	s_or_b64 exec, exec, s[16:17]
	s_and_saveexec_b64 s[16:17], s[0:1]
	s_cbranch_execz .LBB7_127
; %bb.124:
	v_mov_b32_e32 v28, 0
	v_mul_f64 v[20:21], v[18:19], v[18:19]
	v_mov_b32_e32 v29, 0x3ff00000
	s_mov_b32 s20, 0
	v_mul_f64 v[22:23], v[18:19], v[20:21]
	s_mov_b64 s[18:19], 0
	s_mov_b32 s21, 0x3cb00000
	v_pk_mov_b32 v[26:27], v[28:29], v[28:29] op_sel:[0,1]
	v_pk_mov_b32 v[24:25], v[18:19], v[18:19] op_sel:[0,1]
	;; [unrolled: 1-line block ×3, first 2 shown]
.LBB7_125:                              ; =>This Inner Loop Header: Depth=1
	v_mul_f64 v[28:29], v[22:23], v[28:29]
	v_add_f64 v[30:31], v[26:27], 1.0
	v_mul_f64 v[18:19], v[22:23], v[18:19]
	v_div_scale_f64 v[32:33], s[0:1], v[30:31], v[30:31], v[28:29]
	v_add_f64 v[36:37], v[30:31], 1.0
	v_rcp_f64_e32 v[38:39], v[32:33]
	v_div_scale_f64 v[40:41], s[0:1], v[36:37], v[36:37], v[18:19]
	v_rcp_f64_e32 v[44:45], v[40:41]
	v_fma_f64 v[46:47], -v[32:33], v[38:39], 1.0
	v_fmac_f64_e32 v[38:39], v[38:39], v[46:47]
	v_fma_f64 v[48:49], -v[32:33], v[38:39], 1.0
	v_fma_f64 v[46:47], -v[40:41], v[44:45], 1.0
	v_fmac_f64_e32 v[44:45], v[44:45], v[46:47]
	v_div_scale_f64 v[34:35], vcc, v[28:29], v[30:31], v[28:29]
	v_fmac_f64_e32 v[38:39], v[38:39], v[48:49]
	v_fma_f64 v[46:47], -v[40:41], v[44:45], 1.0
	v_div_scale_f64 v[42:43], s[0:1], v[18:19], v[36:37], v[18:19]
	v_mul_f64 v[48:49], v[34:35], v[38:39]
	v_fmac_f64_e32 v[44:45], v[44:45], v[46:47]
	v_fma_f64 v[32:33], -v[32:33], v[48:49], v[34:35]
	v_mul_f64 v[34:35], v[42:43], v[44:45]
	v_div_fmas_f64 v[32:33], v[32:33], v[38:39], v[48:49]
	v_fma_f64 v[38:39], -v[40:41], v[34:35], v[42:43]
	s_mov_b64 vcc, s[0:1]
	v_div_fixup_f64 v[28:29], v[32:33], v[30:31], v[28:29]
	v_div_fmas_f64 v[30:31], v[38:39], v[44:45], v[34:35]
	v_div_fixup_f64 v[18:19], v[30:31], v[36:37], v[18:19]
	v_div_scale_f64 v[30:31], s[0:1], v[36:37], v[36:37], v[28:29]
	v_add_f64 v[26:27], v[36:37], 1.0
	v_rcp_f64_e32 v[34:35], v[30:31]
	v_div_scale_f64 v[38:39], s[0:1], v[26:27], v[26:27], v[18:19]
	v_rcp_f64_e32 v[42:43], v[38:39]
	v_fma_f64 v[44:45], -v[30:31], v[34:35], 1.0
	v_fmac_f64_e32 v[34:35], v[34:35], v[44:45]
	v_fma_f64 v[46:47], -v[30:31], v[34:35], 1.0
	v_fma_f64 v[44:45], -v[38:39], v[42:43], 1.0
	v_div_scale_f64 v[32:33], vcc, v[28:29], v[36:37], v[28:29]
	v_fmac_f64_e32 v[42:43], v[42:43], v[44:45]
	v_fmac_f64_e32 v[34:35], v[34:35], v[46:47]
	v_fma_f64 v[44:45], -v[38:39], v[42:43], 1.0
	v_mul_f64 v[46:47], v[32:33], v[34:35]
	v_div_scale_f64 v[40:41], s[0:1], v[18:19], v[26:27], v[18:19]
	v_fmac_f64_e32 v[42:43], v[42:43], v[44:45]
	v_fma_f64 v[30:31], -v[30:31], v[46:47], v[32:33]
	v_mul_f64 v[32:33], v[40:41], v[42:43]
	v_div_fmas_f64 v[30:31], v[30:31], v[34:35], v[46:47]
	v_fma_f64 v[34:35], -v[38:39], v[32:33], v[40:41]
	v_div_fixup_f64 v[28:29], v[30:31], v[36:37], v[28:29]
	s_mov_b64 vcc, s[0:1]
	v_div_fmas_f64 v[30:31], v[34:35], v[42:43], v[32:33]
	v_add_f64 v[20:21], v[20:21], v[28:29]
	v_div_fixup_f64 v[18:19], v[30:31], v[26:27], v[18:19]
	v_div_scale_f64 v[30:31], s[0:1], v[20:21], v[20:21], v[28:29]
	v_rcp_f64_e32 v[32:33], v[30:31]
	v_div_scale_f64 v[34:35], vcc, v[28:29], v[20:21], v[28:29]
	v_add_f64 v[24:25], v[24:25], v[18:19]
	v_fma_f64 v[36:37], -v[30:31], v[32:33], 1.0
	v_fmac_f64_e32 v[32:33], v[32:33], v[36:37]
	v_fma_f64 v[36:37], -v[30:31], v[32:33], 1.0
	v_fmac_f64_e32 v[32:33], v[32:33], v[36:37]
	v_mul_f64 v[36:37], v[34:35], v[32:33]
	v_fma_f64 v[30:31], -v[30:31], v[36:37], v[34:35]
	v_div_fmas_f64 v[30:31], v[30:31], v[32:33], v[36:37]
	v_div_fixup_f64 v[30:31], v[30:31], v[20:21], v[28:29]
	v_cmp_ngt_f64_e64 s[0:1], |v[30:31]|, s[20:21]
	s_or_b64 s[18:19], s[0:1], s[18:19]
	s_andn2_b64 exec, exec, s[18:19]
	s_cbranch_execnz .LBB7_125
; %bb.126:
	s_or_b64 exec, exec, s[18:19]
	s_mov_b32 s0, 0x42b70f8b
	s_mov_b32 s1, 0xbfd0907f
	v_mul_f64 v[18:19], v[24:25], s[0:1]
	s_mov_b32 s0, 0x962715b8
	s_mov_b32 s1, 0x3fd6b8c7
	v_fmac_f64_e32 v[18:19], s[0:1], v[20:21]
	v_cndmask_b32_e64 v17, v17, v19, s[14:15]
	v_cndmask_b32_e64 v16, v16, v18, s[14:15]
.LBB7_127:
	s_or_b64 exec, exec, s[16:17]
                                        ; implicit-def: $vgpr18_vgpr19
.LBB7_128:
	s_andn2_saveexec_b64 s[12:13], s[12:13]
	s_cbranch_execz .LBB7_138
; %bb.129:
	s_mov_b32 s0, 0
	s_brev_b32 s1, 9
	v_cmp_lt_f64_e32 vcc, s[0:1], v[18:19]
	v_cndmask_b32_e64 v1, 0, 1, vcc
	v_lshlrev_b32_e32 v1, 8, v1
	v_ldexp_f64 v[16:17], -v[18:19], v1
	v_rsq_f64_e32 v[20:21], v[16:17]
	v_mov_b32_e32 v1, 0xffffff80
	v_cndmask_b32_e32 v1, 0, v1, vcc
	v_mul_f64 v[18:19], v[18:19], -2.0
	v_mul_f64 v[22:23], v[16:17], v[20:21]
	v_mul_f64 v[20:21], v[20:21], 0.5
	v_fma_f64 v[24:25], -v[20:21], v[22:23], 0.5
	v_fmac_f64_e32 v[22:23], v[22:23], v[24:25]
	v_fma_f64 v[26:27], -v[22:23], v[22:23], v[16:17]
	v_fmac_f64_e32 v[20:21], v[20:21], v[24:25]
	v_fmac_f64_e32 v[22:23], v[26:27], v[20:21]
	v_fma_f64 v[24:25], -v[22:23], v[22:23], v[16:17]
	v_fmac_f64_e32 v[22:23], v[24:25], v[20:21]
	v_ldexp_f64 v[20:21], v[22:23], v1
	v_mov_b32_e32 v1, 0x260
	v_cmp_class_f64_e32 vcc, v[16:17], v1
	v_cndmask_b32_e32 v17, v21, v17, vcc
	v_cndmask_b32_e32 v16, v20, v16, vcc
	s_mov_b32 s14, 0
	v_mul_f64 v[18:19], v[18:19], v[16:17]
	s_mov_b32 s15, 0x40080000
	v_div_scale_f64 v[20:21], s[0:1], s[14:15], s[14:15], v[18:19]
	v_rcp_f64_e32 v[22:23], v[20:21]
	s_mov_b32 s17, 0x3fe921fb
	s_mov_b32 s16, 0x54442d18
	s_movk_i32 s0, 0xff80
	v_fma_f64 v[24:25], -v[20:21], v[22:23], 1.0
	v_fmac_f64_e32 v[22:23], v[22:23], v[24:25]
	v_fma_f64 v[24:25], -v[20:21], v[22:23], 1.0
	v_fmac_f64_e32 v[22:23], v[22:23], v[24:25]
	v_div_scale_f64 v[24:25], vcc, v[18:19], s[14:15], v[18:19]
	v_mul_f64 v[26:27], v[24:25], v[22:23]
	v_fma_f64 v[20:21], -v[20:21], v[26:27], v[24:25]
                                        ; implicit-def: $vgpr3
                                        ; implicit-def: $vgpr28_vgpr29
	s_nop 1
	v_div_fmas_f64 v[20:21], v[20:21], v[22:23], v[26:27]
	v_div_fixup_f64 v[24:25], v[20:21], s[14:15], v[18:19]
	s_mov_b32 s14, 0
	v_add_f64 v[18:19], v[24:25], s[16:17]
	s_mov_b32 s15, 0x41d00000
	v_cmp_nlt_f64_e64 s[14:15], |v[18:19]|, s[14:15]
                                        ; implicit-def: $vgpr26_vgpr27
	s_and_saveexec_b64 s[18:19], s[14:15]
	s_xor_b64 s[18:19], exec, s[18:19]
	s_cbranch_execz .LBB7_131
; %bb.130:
	s_mov_b32 s20, 0
	s_mov_b32 s21, 0x7b000000
	v_and_b32_e32 v1, 0x7fffffff, v19
	v_ldexp_f64 v[26:27], |v[18:19]|, s0
	v_cmp_ge_f64_e64 vcc, |v[18:19]|, s[20:21]
	v_trig_preop_f64 v[20:21], |v[18:19]|, 0
	v_cndmask_b32_e32 v27, v1, v27, vcc
	v_cndmask_b32_e32 v26, v18, v26, vcc
	v_trig_preop_f64 v[22:23], |v[18:19]|, 1
	v_mul_f64 v[30:31], v[20:21], v[26:27]
	v_mul_f64 v[28:29], v[22:23], v[26:27]
	v_fma_f64 v[20:21], v[20:21], v[26:27], -v[30:31]
	v_add_f64 v[32:33], v[28:29], v[20:21]
	v_add_f64 v[34:35], v[30:31], v[32:33]
	s_mov_b32 s0, 0
	v_ldexp_f64 v[36:37], v[34:35], -2
	s_mov_b32 s1, 0x7ff00000
	v_fract_f64_e32 v[38:39], v[36:37]
	v_cmp_neq_f64_e64 vcc, |v[36:37]|, s[0:1]
	v_cndmask_b32_e32 v37, 0, v39, vcc
	v_cndmask_b32_e32 v36, 0, v38, vcc
	v_add_f64 v[38:39], v[32:33], -v[28:29]
	v_add_f64 v[20:21], v[20:21], -v[38:39]
	;; [unrolled: 1-line block ×4, first 2 shown]
	v_fma_f64 v[22:23], v[22:23], v[26:27], -v[28:29]
	v_trig_preop_f64 v[28:29], |v[18:19]|, 2
	v_add_f64 v[20:21], v[20:21], v[38:39]
	v_mul_f64 v[38:39], v[28:29], v[26:27]
	v_add_f64 v[42:43], v[38:39], v[22:23]
	v_add_f64 v[44:45], v[42:43], v[20:21]
	v_add_f64 v[30:31], v[34:35], -v[30:31]
	v_add_f64 v[34:35], v[44:45], -v[42:43]
	;; [unrolled: 1-line block ×5, first 2 shown]
	v_add_f64 v[20:21], v[20:21], v[34:35]
	v_add_f64 v[34:35], v[42:43], -v[38:39]
	v_add_f64 v[22:23], v[22:23], -v[34:35]
	;; [unrolled: 1-line block ×4, first 2 shown]
	v_add_f64 v[22:23], v[22:23], v[34:35]
	v_add_f64 v[30:31], v[32:33], -v[30:31]
	v_add_f64 v[20:21], v[22:23], v[20:21]
	v_fma_f64 v[22:23], v[28:29], v[26:27], -v[38:39]
	v_add_f64 v[32:33], v[30:31], v[44:45]
	v_add_f64 v[20:21], v[22:23], v[20:21]
	v_ldexp_f64 v[22:23], v[36:37], 2
	v_add_f64 v[26:27], v[32:33], v[22:23]
	v_mov_b32_e32 v1, 0x40100000
	v_cmp_gt_f64_e32 vcc, 0, v[26:27]
	v_mov_b32_e32 v40, 0
	v_cndmask_b32_e32 v41, 0, v1, vcc
	v_add_f64 v[22:23], v[22:23], v[40:41]
	v_add_f64 v[26:27], v[32:33], v[22:23]
	v_cvt_i32_f64_e32 v1, v[26:27]
	v_cvt_f64_i32_e32 v[26:27], v1
	v_add_f64 v[22:23], v[22:23], -v[26:27]
	v_add_f64 v[26:27], v[32:33], v[22:23]
	v_add_f64 v[30:31], v[32:33], -v[30:31]
	v_cmp_le_f64_e32 vcc, 0.5, v[26:27]
	v_add_f64 v[30:31], v[44:45], -v[30:31]
	v_add_f64 v[22:23], v[26:27], -v[22:23]
	v_addc_co_u32_e64 v3, s[0:1], 0, v1, vcc
	v_mov_b32_e32 v1, 0x3ff00000
	v_add_f64 v[20:21], v[30:31], v[20:21]
	v_add_f64 v[22:23], v[32:33], -v[22:23]
	v_cndmask_b32_e32 v41, 0, v1, vcc
	v_add_f64 v[20:21], v[20:21], v[22:23]
	v_add_f64 v[22:23], v[26:27], -v[40:41]
	v_add_f64 v[26:27], v[22:23], v[20:21]
	v_add_f64 v[22:23], v[26:27], -v[22:23]
	s_mov_b32 s17, 0x3ff921fb
	v_add_f64 v[20:21], v[20:21], -v[22:23]
	v_mul_f64 v[22:23], v[26:27], s[16:17]
	s_mov_b32 s0, 0x33145c07
	v_fma_f64 v[28:29], v[26:27], s[16:17], -v[22:23]
	s_mov_b32 s1, 0x3c91a626
	v_fmac_f64_e32 v[28:29], s[0:1], v[26:27]
	v_fmac_f64_e32 v[28:29], s[16:17], v[20:21]
	v_add_f64 v[26:27], v[22:23], v[28:29]
	v_add_f64 v[20:21], v[26:27], -v[22:23]
	v_add_f64 v[28:29], v[28:29], -v[20:21]
	s_andn2_saveexec_b64 s[0:1], s[18:19]
	s_cbranch_execz .LBB7_133
	s_branch .LBB7_132
.LBB7_131:
	s_andn2_saveexec_b64 s[0:1], s[18:19]
	s_cbranch_execz .LBB7_133
.LBB7_132:
	s_mov_b32 s16, 0x6dc9c883
	s_mov_b32 s17, 0x3fe45f30
	v_mul_f64 v[20:21], |v[18:19]|, s[16:17]
	s_mov_b32 s16, 0x54442d18
	v_rndne_f64_e32 v[20:21], v[20:21]
	s_mov_b32 s17, 0xbff921fb
	v_fma_f64 v[22:23], v[20:21], s[16:17], |v[18:19]|
	s_mov_b32 s17, 0xbc91a626
	s_mov_b32 s16, 0x33145c00
	v_mul_f64 v[26:27], v[20:21], s[16:17]
	v_add_f64 v[32:33], v[22:23], v[26:27]
	v_fma_f64 v[28:29], s[16:17], v[20:21], v[22:23]
	s_mov_b32 s17, 0x3c91a626
	v_add_f64 v[22:23], v[22:23], -v[32:33]
	v_fma_f64 v[30:31], s[16:17], v[20:21], v[26:27]
	v_add_f64 v[22:23], v[22:23], v[26:27]
	v_add_f64 v[26:27], v[32:33], -v[28:29]
	v_add_f64 v[22:23], v[26:27], v[22:23]
	s_mov_b32 s16, 0x252049c0
	v_add_f64 v[22:23], v[22:23], -v[30:31]
	s_mov_b32 s17, 0xb97b839a
	v_fmac_f64_e32 v[22:23], s[16:17], v[20:21]
	v_add_f64 v[26:27], v[28:29], v[22:23]
	v_add_f64 v[28:29], v[26:27], -v[28:29]
	v_add_f64 v[28:29], v[22:23], -v[28:29]
	v_cvt_i32_f64_e32 v3, v[20:21]
.LBB7_133:
	s_or_b64 exec, exec, s[0:1]
                                        ; implicit-def: $vgpr1
                                        ; implicit-def: $vgpr20_vgpr21
                                        ; implicit-def: $vgpr22_vgpr23
	s_and_saveexec_b64 s[0:1], s[14:15]
	s_xor_b64 s[14:15], exec, s[0:1]
	s_cbranch_execz .LBB7_135
; %bb.134:
	s_mov_b32 s0, 0
	s_mov_b32 s1, 0x7b000000
	s_movk_i32 s16, 0xff80
	v_and_b32_e32 v1, 0x7fffffff, v19
	v_ldexp_f64 v[30:31], |v[18:19]|, s16
	v_cmp_ge_f64_e64 vcc, |v[18:19]|, s[0:1]
	v_trig_preop_f64 v[20:21], |v[18:19]|, 0
	v_cndmask_b32_e32 v31, v1, v31, vcc
	v_cndmask_b32_e32 v30, v18, v30, vcc
	v_trig_preop_f64 v[22:23], |v[18:19]|, 1
	v_mul_f64 v[34:35], v[20:21], v[30:31]
	v_mul_f64 v[32:33], v[22:23], v[30:31]
	v_fma_f64 v[20:21], v[20:21], v[30:31], -v[34:35]
	v_add_f64 v[36:37], v[32:33], v[20:21]
	v_add_f64 v[38:39], v[34:35], v[36:37]
	s_mov_b32 s0, 0
	v_ldexp_f64 v[40:41], v[38:39], -2
	s_mov_b32 s1, 0x7ff00000
	v_fract_f64_e32 v[42:43], v[40:41]
	v_cmp_neq_f64_e64 vcc, |v[40:41]|, s[0:1]
	v_cndmask_b32_e32 v41, 0, v43, vcc
	v_cndmask_b32_e32 v40, 0, v42, vcc
	v_add_f64 v[42:43], v[36:37], -v[32:33]
	v_add_f64 v[20:21], v[20:21], -v[42:43]
	;; [unrolled: 1-line block ×4, first 2 shown]
	v_fma_f64 v[22:23], v[22:23], v[30:31], -v[32:33]
	v_trig_preop_f64 v[32:33], |v[18:19]|, 2
	v_add_f64 v[20:21], v[20:21], v[42:43]
	v_mul_f64 v[42:43], v[32:33], v[30:31]
	v_add_f64 v[46:47], v[42:43], v[22:23]
	v_add_f64 v[48:49], v[46:47], v[20:21]
	v_add_f64 v[34:35], v[38:39], -v[34:35]
	v_add_f64 v[38:39], v[48:49], -v[46:47]
	;; [unrolled: 1-line block ×5, first 2 shown]
	v_add_f64 v[20:21], v[20:21], v[38:39]
	v_add_f64 v[38:39], v[46:47], -v[42:43]
	v_add_f64 v[22:23], v[22:23], -v[38:39]
	;; [unrolled: 1-line block ×4, first 2 shown]
	v_add_f64 v[22:23], v[22:23], v[38:39]
	v_add_f64 v[34:35], v[36:37], -v[34:35]
	v_add_f64 v[20:21], v[22:23], v[20:21]
	v_fma_f64 v[22:23], v[32:33], v[30:31], -v[42:43]
	v_add_f64 v[36:37], v[34:35], v[48:49]
	v_add_f64 v[20:21], v[22:23], v[20:21]
	v_ldexp_f64 v[22:23], v[40:41], 2
	v_add_f64 v[30:31], v[36:37], v[22:23]
	v_mov_b32_e32 v1, 0x40100000
	v_cmp_gt_f64_e32 vcc, 0, v[30:31]
	v_mov_b32_e32 v44, 0
	v_cndmask_b32_e32 v45, 0, v1, vcc
	v_add_f64 v[22:23], v[22:23], v[44:45]
	v_add_f64 v[30:31], v[36:37], v[22:23]
	v_cvt_i32_f64_e32 v1, v[30:31]
	v_cvt_f64_i32_e32 v[30:31], v1
	v_add_f64 v[22:23], v[22:23], -v[30:31]
	v_add_f64 v[34:35], v[36:37], -v[34:35]
	v_add_f64 v[30:31], v[36:37], v[22:23]
	v_add_f64 v[34:35], v[48:49], -v[34:35]
	v_add_f64 v[22:23], v[30:31], -v[22:23]
	v_cmp_le_f64_e32 vcc, 0.5, v[30:31]
	v_mov_b32_e32 v5, 0x3ff00000
	v_add_f64 v[20:21], v[34:35], v[20:21]
	v_add_f64 v[22:23], v[36:37], -v[22:23]
	v_cndmask_b32_e32 v45, 0, v5, vcc
	v_add_f64 v[20:21], v[20:21], v[22:23]
	v_addc_co_u32_e64 v1, s[0:1], 0, v1, vcc
	v_add_f64 v[22:23], v[30:31], -v[44:45]
	v_add_f64 v[30:31], v[22:23], v[20:21]
	s_mov_b32 s0, 0x54442d18
	v_add_f64 v[22:23], v[30:31], -v[22:23]
	s_mov_b32 s1, 0x3ff921fb
	v_add_f64 v[20:21], v[20:21], -v[22:23]
	v_mul_f64 v[22:23], v[30:31], s[0:1]
	s_mov_b32 s16, 0x33145c07
	v_fma_f64 v[32:33], v[30:31], s[0:1], -v[22:23]
	s_mov_b32 s17, 0x3c91a626
	v_fmac_f64_e32 v[32:33], s[16:17], v[30:31]
	v_fmac_f64_e32 v[32:33], s[0:1], v[20:21]
	v_add_f64 v[20:21], v[22:23], v[32:33]
	v_add_f64 v[22:23], v[20:21], -v[22:23]
	v_add_f64 v[22:23], v[32:33], -v[22:23]
	s_andn2_saveexec_b64 s[0:1], s[14:15]
	s_cbranch_execnz .LBB7_136
	s_branch .LBB7_137
.LBB7_135:
	s_andn2_saveexec_b64 s[0:1], s[14:15]
	s_cbranch_execz .LBB7_137
.LBB7_136:
	s_mov_b32 s14, 0x6dc9c883
	s_mov_b32 s15, 0x3fe45f30
	v_mul_f64 v[20:21], |v[18:19]|, s[14:15]
	s_mov_b32 s14, 0x54442d18
	v_rndne_f64_e32 v[30:31], v[20:21]
	s_mov_b32 s15, 0xbff921fb
	v_fma_f64 v[20:21], v[30:31], s[14:15], |v[18:19]|
	s_mov_b32 s15, 0xbc91a626
	s_mov_b32 s14, 0x33145c00
	v_mul_f64 v[32:33], v[30:31], s[14:15]
	v_add_f64 v[36:37], v[20:21], v[32:33]
	v_fma_f64 v[22:23], s[14:15], v[30:31], v[20:21]
	s_mov_b32 s15, 0x3c91a626
	v_add_f64 v[20:21], v[20:21], -v[36:37]
	v_fma_f64 v[34:35], s[14:15], v[30:31], v[32:33]
	v_add_f64 v[20:21], v[20:21], v[32:33]
	v_add_f64 v[32:33], v[36:37], -v[22:23]
	v_add_f64 v[20:21], v[32:33], v[20:21]
	s_mov_b32 s14, 0x252049c0
	v_add_f64 v[32:33], v[20:21], -v[34:35]
	s_mov_b32 s15, 0xb97b839a
	v_fmac_f64_e32 v[32:33], s[14:15], v[30:31]
	v_add_f64 v[20:21], v[22:23], v[32:33]
	v_add_f64 v[22:23], v[20:21], -v[22:23]
	v_add_f64 v[22:23], v[32:33], -v[22:23]
	v_cvt_i32_f64_e32 v1, v[30:31]
.LBB7_137:
	s_or_b64 exec, exec, s[0:1]
	v_div_scale_f64 v[30:31], s[0:1], v[24:25], v[24:25], 1.0
	v_rcp_f64_e32 v[32:33], v[30:31]
	v_div_scale_f64 v[34:35], vcc, 1.0, v[24:25], 1.0
	v_mov_b32_e32 v38, 0xaf76e73b
	v_fma_f64 v[36:37], -v[30:31], v[32:33], 1.0
	v_fmac_f64_e32 v[32:33], v[32:33], v[36:37]
	v_fma_f64 v[36:37], -v[30:31], v[32:33], 1.0
	v_fmac_f64_e32 v[32:33], v[32:33], v[36:37]
	v_mul_f64 v[36:37], v[34:35], v[32:33]
	v_fma_f64 v[30:31], -v[30:31], v[36:37], v[34:35]
	v_div_fmas_f64 v[30:31], v[30:31], v[32:33], v[36:37]
	v_div_fixup_f64 v[24:25], v[30:31], v[24:25], 1.0
	v_mul_f64 v[30:31], v[24:25], v[24:25]
	v_mov_b32_e32 v32, 0xd50ae6fb
	v_mov_b32_e32 v33, 0xbfc0db6c
	v_fmac_f64_e32 v[32:33], 0, v[30:31]
	v_mov_b32_e32 v34, 0x98566852
	v_mov_b32_e32 v35, 0xbfe40bee
	v_fmac_f64_e32 v[34:35], v[30:31], v[32:33]
	;; [unrolled: 3-line block ×15, first 2 shown]
	v_mov_b32_e32 v39, 0x3f13c8d7
	v_fmac_f64_e32 v[38:39], v[30:31], v[32:33]
	v_mov_b32_e32 v36, 0xb99518a7
	v_mov_b32_e32 v37, 0x3e9e52b9
	v_mul_f64 v[40:41], v[26:27], v[26:27]
	v_fmac_f64_e32 v[36:37], v[30:31], v[38:39]
	v_mov_b32_e32 v38, 0xf68ea2d2
	v_mov_b32_e32 v39, 0xbe52041c
	v_mul_f64 v[32:33], v[40:41], 0.5
	v_fmac_f64_e32 v[38:39], v[30:31], v[34:35]
	v_add_f64 v[34:35], -v[32:33], 1.0
	s_mov_b32 s0, 0x9037ab78
	v_add_f64 v[42:43], -v[34:35], 1.0
	s_mov_b32 s1, 0x3e21eeb6
	s_mov_b32 s14, 0x46cc5e42
	v_add_f64 v[42:43], v[42:43], -v[32:33]
	s_mov_b32 s15, 0xbda907db
	v_pk_mov_b32 v[32:33], s[0:1], s[0:1] op_sel:[0,1]
	s_mov_b32 s16, 0xa17f65f6
	v_fma_f64 v[46:47], s[14:15], v[40:41], v[32:33]
	s_mov_b32 s17, 0xbe927e4f
	s_mov_b32 s18, 0x19f4ec90
	v_fma_f64 v[46:47], v[40:41], v[46:47], s[16:17]
	s_mov_b32 s19, 0x3efa01a0
	;; [unrolled: 3-line block ×4, first 2 shown]
	v_mul_f64 v[44:45], v[40:41], v[40:41]
	v_fma_f64 v[46:47], v[40:41], v[46:47], s[22:23]
	v_fma_f64 v[42:43], v[26:27], -v[28:29], v[42:43]
	s_mov_b32 s0, 0xb42fdfa7
	v_fmac_f64_e32 v[42:43], v[44:45], v[46:47]
	s_mov_b32 s1, 0xbe5ae600
	s_mov_b32 s24, 0xf9a43bb8
	v_add_f64 v[42:43], v[34:35], v[42:43]
	s_mov_b32 s25, 0x3de5e0b2
	v_pk_mov_b32 v[34:35], s[0:1], s[0:1] op_sel:[0,1]
	s_mov_b32 s26, 0x796cde01
	v_fma_f64 v[44:45], s[24:25], v[40:41], v[34:35]
	s_mov_b32 s27, 0x3ec71de3
	s_mov_b32 s28, 0x19e83e5c
	v_fma_f64 v[44:45], v[40:41], v[44:45], s[26:27]
	s_mov_b32 s29, 0xbf2a01a0
	;; [unrolled: 3-line block ×3, first 2 shown]
	v_fma_f64 v[44:45], v[40:41], v[44:45], s[30:31]
	v_mul_f64 v[46:47], v[26:27], -v[40:41]
	v_mul_f64 v[48:49], v[28:29], 0.5
	v_fmac_f64_e32 v[48:49], v[46:47], v[44:45]
	v_fma_f64 v[28:29], v[40:41], v[48:49], -v[28:29]
	s_mov_b32 s35, 0xbfc55555
	s_mov_b32 s34, s22
	v_fmac_f64_e32 v[28:29], s[34:35], v[46:47]
	v_and_b32_e32 v5, 1, v3
	v_add_f64 v[26:27], v[26:27], -v[28:29]
	v_cmp_eq_u32_e32 vcc, 0, v5
	v_cndmask_b32_e32 v5, v42, v26, vcc
	v_cndmask_b32_e32 v7, v43, v27, vcc
	v_mul_f64 v[26:27], v[30:31], v[38:39]
	v_div_scale_f64 v[28:29], s[0:1], v[36:37], v[36:37], v[26:27]
	v_rcp_f64_e32 v[38:39], v[28:29]
	v_lshlrev_b32_e32 v3, 30, v3
	v_xor_b32_e32 v3, v3, v19
	s_movk_i32 s33, 0x1f8
	v_fma_f64 v[40:41], -v[28:29], v[38:39], 1.0
	v_fmac_f64_e32 v[38:39], v[38:39], v[40:41]
	v_fma_f64 v[40:41], -v[28:29], v[38:39], 1.0
	v_fmac_f64_e32 v[38:39], v[38:39], v[40:41]
	v_div_scale_f64 v[40:41], vcc, v[26:27], v[36:37], v[26:27]
	v_mul_f64 v[42:43], v[40:41], v[38:39]
	v_fma_f64 v[28:29], -v[28:29], v[42:43], v[40:41]
	s_mov_b32 s36, 0
	s_nop 0
	v_div_fmas_f64 v[28:29], v[28:29], v[38:39], v[42:43]
	v_div_fixup_f64 v[26:27], v[28:29], v[36:37], v[26:27]
	v_mov_b32_e32 v28, 0xddcfbbde
	v_mov_b32_e32 v29, 0x3f943525
	v_fmac_f64_e32 v[28:29], 0, v[30:31]
	v_mov_b32_e32 v36, 0x6437b7
	v_mov_b32_e32 v37, 0x3fd907d5
	v_fmac_f64_e32 v[36:37], v[30:31], v[28:29]
	;; [unrolled: 3-line block ×13, first 2 shown]
	v_mov_b32_e32 v36, 0x7ea7dc35
	v_mov_b32_e32 v37, 0x402f211b
	v_and_b32_e32 v3, 0x80000000, v3
	v_cmp_class_f64_e64 s[0:1], v[18:19], s33
	v_fmac_f64_e32 v[36:37], v[30:31], v[38:39]
	v_mov_b32_e32 v38, 0x2b79dbce
	v_mov_b32_e32 v39, 0x4015e84e
	s_brev_b32 s37, 8
	v_xor_b32_e32 v3, v7, v3
	v_cndmask_b32_e64 v18, 0, v5, s[0:1]
	v_mov_b32_e32 v5, 0x7ff80000
	v_fmac_f64_e32 v[38:39], v[30:31], v[36:37]
	v_mov_b32_e32 v36, 0xc195ece3
	v_mov_b32_e32 v37, 0x3fee8992
	v_cmp_gt_f64_e32 vcc, s[36:37], v[16:17]
	v_cndmask_b32_e64 v19, v5, v3, s[0:1]
	v_fmac_f64_e32 v[36:37], v[30:31], v[38:39]
	v_mov_b32_e32 v38, 0xed64a9ee
	v_mov_b32_e32 v39, 0x3fb6221d
	v_cndmask_b32_e64 v3, 0, 1, vcc
	v_fmac_f64_e32 v[38:39], v[30:31], v[36:37]
	v_mov_b32_e32 v36, 0x6be393bb
	v_mov_b32_e32 v37, 0x3f70e704
	v_lshlrev_b32_e32 v3, 8, v3
	v_fmac_f64_e32 v[36:37], v[30:31], v[38:39]
	v_mov_b32_e32 v38, 0xd603a5a0
	v_mov_b32_e32 v39, 0x3f1a8b61
	v_ldexp_f64 v[16:17], v[16:17], v3
	v_fmac_f64_e32 v[38:39], v[30:31], v[36:37]
	v_rsq_f64_e32 v[36:37], v[16:17]
	v_mov_b32_e32 v40, 0xdb0724e8
	v_mov_b32_e32 v41, 0x3eb3a845
	v_fmac_f64_e32 v[40:41], v[30:31], v[38:39]
	v_mul_f64 v[38:39], v[16:17], v[36:37]
	v_mul_f64 v[36:37], v[36:37], 0.5
	v_fma_f64 v[42:43], -v[36:37], v[38:39], 0.5
	v_fmac_f64_e32 v[38:39], v[38:39], v[42:43]
	v_fma_f64 v[44:45], -v[38:39], v[38:39], v[16:17]
	v_fmac_f64_e32 v[36:37], v[36:37], v[42:43]
	v_fmac_f64_e32 v[38:39], v[44:45], v[36:37]
	v_fma_f64 v[42:43], -v[38:39], v[38:39], v[16:17]
	v_mov_b32_e32 v3, 0xffffff80
	v_fmac_f64_e32 v[38:39], v[42:43], v[36:37]
	v_cndmask_b32_e32 v3, 0, v3, vcc
	v_ldexp_f64 v[36:37], v[38:39], v3
	v_mov_b32_e32 v3, 0x260
	v_cmp_class_f64_e32 vcc, v[16:17], v3
	s_mov_b32 s36, 0x50429b6d
	v_cndmask_b32_e32 v17, v37, v17, vcc
	v_cndmask_b32_e32 v16, v36, v16, vcc
	s_mov_b32 s37, 0x3fe20dd7
	v_div_scale_f64 v[36:37], s[38:39], v[16:17], v[16:17], s[36:37]
	v_rcp_f64_e32 v[38:39], v[36:37]
	v_mov_b32_e32 v42, 0x3dd589d4
	v_mov_b32_e32 v43, 0x3e351fc7
	v_fmac_f64_e32 v[42:43], v[30:31], v[40:41]
	v_fma_f64 v[30:31], -v[36:37], v[38:39], 1.0
	v_fmac_f64_e32 v[38:39], v[38:39], v[30:31]
	v_fma_f64 v[30:31], -v[36:37], v[38:39], 1.0
	v_fmac_f64_e32 v[38:39], v[38:39], v[30:31]
	v_div_scale_f64 v[30:31], vcc, s[36:37], v[16:17], s[36:37]
	v_mul_f64 v[40:41], v[30:31], v[38:39]
	v_fma_f64 v[30:31], -v[36:37], v[40:41], v[30:31]
	v_and_b32_e32 v7, 1, v1
	s_nop 0
	v_div_fmas_f64 v[30:31], v[30:31], v[38:39], v[40:41]
	v_div_fixup_f64 v[16:17], v[30:31], v[16:17], s[36:37]
	v_mul_f64 v[30:31], v[20:21], v[20:21]
	v_mul_f64 v[36:37], v[30:31], 0.5
	v_fmac_f64_e32 v[32:33], s[14:15], v[30:31]
	v_add_f64 v[38:39], -v[36:37], 1.0
	v_fma_f64 v[32:33], v[30:31], v[32:33], s[16:17]
	v_add_f64 v[40:41], -v[38:39], 1.0
	v_fma_f64 v[32:33], v[30:31], v[32:33], s[18:19]
	v_add_f64 v[36:37], v[40:41], -v[36:37]
	v_fma_f64 v[32:33], v[30:31], v[32:33], s[20:21]
	v_fmac_f64_e32 v[34:35], s[24:25], v[30:31]
	v_mul_f64 v[40:41], v[30:31], v[30:31]
	v_fma_f64 v[32:33], v[30:31], v[32:33], s[22:23]
	v_fma_f64 v[36:37], v[20:21], -v[22:23], v[36:37]
	v_fma_f64 v[34:35], v[30:31], v[34:35], s[26:27]
	v_fmac_f64_e32 v[36:37], v[40:41], v[32:33]
	v_fma_f64 v[34:35], v[30:31], v[34:35], s[28:29]
	v_add_f64 v[32:33], v[38:39], v[36:37]
	v_fma_f64 v[34:35], v[30:31], v[34:35], s[30:31]
	v_mul_f64 v[36:37], v[20:21], -v[30:31]
	v_mul_f64 v[38:39], v[22:23], 0.5
	v_fmac_f64_e32 v[38:39], v[36:37], v[34:35]
	v_fma_f64 v[22:23], v[30:31], v[38:39], -v[22:23]
	v_fmac_f64_e32 v[22:23], s[34:35], v[36:37]
	v_add_f64 v[20:21], v[20:21], -v[22:23]
	v_cmp_eq_u32_e32 vcc, 0, v7
	v_xor_b32_e32 v3, 0x80000000, v21
	v_cndmask_b32_e32 v7, v20, v32, vcc
	v_mul_f64 v[20:21], v[24:25], v[28:29]
	v_div_scale_f64 v[22:23], s[14:15], v[42:43], v[42:43], v[20:21]
	v_rcp_f64_e32 v[24:25], v[22:23]
	v_cndmask_b32_e32 v3, v3, v33, vcc
	v_lshlrev_b32_e32 v1, 30, v1
	v_and_b32_e32 v1, 0x80000000, v1
	v_fma_f64 v[30:31], -v[22:23], v[24:25], 1.0
	v_fmac_f64_e32 v[24:25], v[24:25], v[30:31]
	v_fma_f64 v[30:31], -v[22:23], v[24:25], 1.0
	v_fmac_f64_e32 v[24:25], v[24:25], v[30:31]
	v_div_scale_f64 v[30:31], vcc, v[20:21], v[42:43], v[20:21]
	v_mul_f64 v[32:33], v[30:31], v[24:25]
	v_fma_f64 v[22:23], -v[22:23], v[32:33], v[30:31]
	v_xor_b32_e32 v1, v3, v1
	s_nop 0
	v_div_fmas_f64 v[22:23], v[22:23], v[24:25], v[32:33]
	v_cndmask_b32_e64 v28, 0, v7, s[0:1]
	v_cndmask_b32_e64 v29, v5, v1, s[0:1]
	v_div_fixup_f64 v[20:21], v[22:23], v[42:43], v[20:21]
	v_add_f64 v[26:27], v[26:27], 1.0
	v_mul_f64 v[20:21], v[20:21], v[28:29]
	v_fma_f64 v[18:19], v[26:27], v[18:19], -v[20:21]
	v_mul_f64 v[16:17], v[16:17], v[18:19]
.LBB7_138:
	s_or_b64 exec, exec, s[12:13]
.LBB7_139:
	s_or_b64 exec, exec, s[10:11]
.LBB7_140:
	s_or_b64 exec, exec, s[8:9]
	global_load_dwordx2 v[12:13], v12, s[6:7]
	s_waitcnt vmcnt(0)
	v_cmp_neq_f64_e64 s[0:1], |v[12:13]|, s[2:3]
	s_and_saveexec_b64 s[2:3], s[0:1]
	s_cbranch_execz .LBB7_162
; %bb.141:
	s_mov_b32 s0, 0x872b020c
	s_mov_b32 s1, 0x4059f916
	v_cmp_nlt_f64_e32 vcc, s[0:1], v[12:13]
	v_pk_mov_b32 v[14:15], 0, 0
	s_and_saveexec_b64 s[6:7], vcc
	s_cbranch_execz .LBB7_161
; %bb.142:
	s_mov_b32 s1, 0xc000b851
	s_mov_b32 s0, 0xeb851eb8
	v_cmp_ngt_f64_e32 vcc, s[0:1], v[12:13]
                                        ; implicit-def: $vgpr14_vgpr15
	s_and_saveexec_b64 s[8:9], vcc
	s_xor_b64 s[8:9], exec, s[8:9]
	s_cbranch_execz .LBB7_150
; %bb.143:
	s_mov_b32 s1, 0x4000b851
	v_cmp_nle_f64_e64 s[10:11], s[0:1], v[12:13]
	v_cmp_le_f64_e32 vcc, s[0:1], v[12:13]
	v_pk_mov_b32 v[14:15], 0, 0
	s_mov_b64 s[0:1], s[10:11]
	s_and_saveexec_b64 s[12:13], vcc
	s_cbranch_execz .LBB7_145
; %bb.144:
	s_mov_b32 s0, 0
	s_brev_b32 s1, 8
	v_cmp_gt_f64_e32 vcc, s[0:1], v[12:13]
	v_cndmask_b32_e64 v1, 0, 1, vcc
	v_lshlrev_b32_e32 v1, 8, v1
	v_ldexp_f64 v[14:15], v[12:13], v1
	v_rsq_f64_e32 v[18:19], v[14:15]
	v_mov_b32_e32 v1, 0xffffff80
	v_cndmask_b32_e32 v3, 0, v1, vcc
	v_add_f64 v[20:21], v[12:13], v[12:13]
	v_mul_f64 v[22:23], v[14:15], v[18:19]
	v_mul_f64 v[18:19], v[18:19], 0.5
	v_fma_f64 v[24:25], -v[18:19], v[22:23], 0.5
	v_fmac_f64_e32 v[22:23], v[22:23], v[24:25]
	v_fma_f64 v[26:27], -v[22:23], v[22:23], v[14:15]
	v_fmac_f64_e32 v[18:19], v[18:19], v[24:25]
	v_fmac_f64_e32 v[22:23], v[26:27], v[18:19]
	v_fma_f64 v[24:25], -v[22:23], v[22:23], v[14:15]
	v_fmac_f64_e32 v[22:23], v[24:25], v[18:19]
	v_ldexp_f64 v[18:19], v[22:23], v3
	v_mov_b32_e32 v3, 0x260
	v_cmp_class_f64_e32 vcc, v[14:15], v3
	v_cndmask_b32_e32 v19, v19, v15, vcc
	v_cndmask_b32_e32 v18, v18, v14, vcc
	s_mov_b32 s14, 0
	v_mul_f64 v[14:15], v[20:21], v[18:19]
	s_mov_b32 s15, 0x40080000
	v_div_scale_f64 v[20:21], s[16:17], s[14:15], s[14:15], v[14:15]
	v_rcp_f64_e32 v[22:23], v[20:21]
	v_fma_f64 v[24:25], -v[20:21], v[22:23], 1.0
	v_fmac_f64_e32 v[22:23], v[22:23], v[24:25]
	v_fma_f64 v[24:25], -v[20:21], v[22:23], 1.0
	v_fmac_f64_e32 v[22:23], v[22:23], v[24:25]
	v_div_scale_f64 v[24:25], vcc, v[14:15], s[14:15], v[14:15]
	v_mul_f64 v[26:27], v[24:25], v[22:23]
	v_fma_f64 v[20:21], -v[20:21], v[26:27], v[24:25]
	s_nop 1
	v_div_fmas_f64 v[20:21], v[20:21], v[22:23], v[26:27]
	v_div_fixup_f64 v[14:15], v[20:21], s[14:15], v[14:15]
	v_div_scale_f64 v[20:21], s[14:15], v[14:15], v[14:15], 1.0
	v_rcp_f64_e32 v[22:23], v[20:21]
	v_fma_f64 v[24:25], -v[20:21], v[22:23], 1.0
	v_fmac_f64_e32 v[22:23], v[22:23], v[24:25]
	v_fma_f64 v[24:25], -v[20:21], v[22:23], 1.0
	v_fmac_f64_e32 v[22:23], v[22:23], v[24:25]
	v_div_scale_f64 v[24:25], vcc, 1.0, v[14:15], 1.0
	v_mul_f64 v[26:27], v[24:25], v[22:23]
	v_fma_f64 v[20:21], -v[20:21], v[26:27], v[24:25]
	v_mov_b32_e32 v24, 0x871a9067
	s_nop 0
	v_div_fmas_f64 v[20:21], v[20:21], v[22:23], v[26:27]
	v_div_fixup_f64 v[20:21], v[20:21], v[14:15], 1.0
	v_mov_b32_e32 v22, 0x2537b658
	v_mov_b32_e32 v23, 0x3fd62dae
	v_fmac_f64_e32 v[22:23], 0, v[20:21]
	v_mov_b32_e32 v25, 0x402803e3
	v_fmac_f64_e32 v[24:25], v[20:21], v[22:23]
	v_mov_b32_e32 v22, 0xde2e1e3
	v_mov_b32_e32 v23, 0x405311e5
	v_fmac_f64_e32 v[22:23], v[20:21], v[24:25]
	v_mov_b32_e32 v24, 0xee40073c
	;; [unrolled: 3-line block ×12, first 2 shown]
	v_mov_b32_e32 v25, 0x402c311b
	v_fmac_f64_e32 v[24:25], v[20:21], v[26:27]
	v_fma_f64 v[24:25], v[20:21], v[24:25], 1.0
	v_fma_f64 v[20:21], v[20:21], v[22:23], 1.0
	v_div_scale_f64 v[22:23], s[14:15], v[24:25], v[24:25], v[20:21]
	v_rcp_f64_e32 v[26:27], v[22:23]
	v_fma_f64 v[28:29], -v[22:23], v[26:27], 1.0
	v_fmac_f64_e32 v[26:27], v[26:27], v[28:29]
	v_fma_f64 v[28:29], -v[22:23], v[26:27], 1.0
	v_fmac_f64_e32 v[26:27], v[26:27], v[28:29]
	v_div_scale_f64 v[28:29], vcc, v[20:21], v[24:25], v[20:21]
	v_mul_f64 v[30:31], v[28:29], v[26:27]
	v_fma_f64 v[22:23], -v[22:23], v[30:31], v[28:29]
	s_nop 1
	v_div_fmas_f64 v[22:23], v[22:23], v[26:27], v[30:31]
	v_cmp_gt_f64_e32 vcc, s[0:1], v[18:19]
	v_cndmask_b32_e64 v5, 0, 1, vcc
	v_lshlrev_b32_e32 v5, 8, v5
	v_div_fixup_f64 v[20:21], v[22:23], v[24:25], v[20:21]
	v_ldexp_f64 v[22:23], v[18:19], v5
	v_rsq_f64_e32 v[24:25], v[22:23]
	s_mov_b32 s0, 0x50429b6d
	s_mov_b32 s1, 0x3fe20dd7
	v_mul_f64 v[18:19], v[20:21], s[0:1]
	v_mul_f64 v[20:21], v[22:23], v[24:25]
	v_mul_f64 v[24:25], v[24:25], 0.5
	v_fma_f64 v[26:27], -v[24:25], v[20:21], 0.5
	v_fmac_f64_e32 v[20:21], v[20:21], v[26:27]
	v_fma_f64 v[28:29], -v[20:21], v[20:21], v[22:23]
	v_fmac_f64_e32 v[24:25], v[24:25], v[26:27]
	v_fmac_f64_e32 v[20:21], v[28:29], v[24:25]
	v_fma_f64 v[26:27], -v[20:21], v[20:21], v[22:23]
	v_fmac_f64_e32 v[20:21], v[26:27], v[24:25]
	v_cndmask_b32_e32 v1, 0, v1, vcc
	s_mov_b32 s0, 0x652b82fe
	v_ldexp_f64 v[20:21], v[20:21], v1
	v_cmp_class_f64_e32 vcc, v[22:23], v3
	s_mov_b32 s1, 0x3ff71547
	v_cndmask_b32_e32 v21, v21, v23, vcc
	v_cndmask_b32_e32 v20, v20, v22, vcc
	v_mul_f64 v[22:23], v[14:15], s[0:1]
	s_mov_b32 s0, 0xfefa39ef
	v_rndne_f64_e32 v[22:23], v[22:23]
	s_mov_b32 s1, 0xbfe62e42
	v_fma_f64 v[24:25], s[0:1], v[22:23], v[14:15]
	s_mov_b32 s0, 0x3b39803f
	s_mov_b32 s1, 0xbc7abc9e
	v_fmac_f64_e32 v[24:25], s[0:1], v[22:23]
	s_mov_b32 s0, 0x6a5dcb37
	v_mov_b32_e32 v26, 0xfca7ab0c
	v_mov_b32_e32 v27, 0x3e928af3
	s_mov_b32 s1, 0x3e5ade15
	v_fmac_f64_e32 v[26:27], s[0:1], v[24:25]
	v_mov_b32_e32 v28, 0x623fde64
	v_mov_b32_e32 v29, 0x3ec71dee
	v_fmac_f64_e32 v[28:29], v[24:25], v[26:27]
	v_mov_b32_e32 v26, 0x7c89e6b0
	v_mov_b32_e32 v27, 0x3efa0199
	;; [unrolled: 3-line block ×8, first 2 shown]
	s_mov_b32 s0, 0
	v_fmac_f64_e32 v[26:27], v[24:25], v[28:29]
	s_mov_b32 s1, 0x40900000
	v_fma_f64 v[26:27], v[24:25], v[26:27], 1.0
	v_cmp_nlt_f64_e32 vcc, s[0:1], v[14:15]
	s_mov_b32 s0, 0
	v_fma_f64 v[24:25], v[24:25], v[26:27], 1.0
	v_cvt_i32_f64_e32 v1, v[22:23]
	s_mov_b32 s1, 0xc090cc00
	v_ldexp_f64 v[22:23], v[24:25], v1
	v_mov_b32_e32 v1, 0x7ff00000
	v_cmp_ngt_f64_e64 s[0:1], s[0:1], v[14:15]
	v_cndmask_b32_e32 v1, v1, v23, vcc
	s_and_b64 vcc, s[0:1], vcc
	v_add_f64 v[20:21], v[20:21], v[20:21]
	v_cndmask_b32_e64 v15, 0, v1, s[0:1]
	v_cndmask_b32_e32 v14, 0, v22, vcc
	v_mul_f64 v[14:15], v[20:21], v[14:15]
	v_div_scale_f64 v[20:21], s[0:1], v[14:15], v[14:15], v[18:19]
	v_rcp_f64_e32 v[22:23], v[20:21]
	s_mov_b32 s0, 0xfd0a823a
	s_mov_b32 s1, 0x4020a402
	v_fma_f64 v[24:25], -v[20:21], v[22:23], 1.0
	v_fmac_f64_e32 v[22:23], v[22:23], v[24:25]
	v_fma_f64 v[24:25], -v[20:21], v[22:23], 1.0
	v_fmac_f64_e32 v[22:23], v[22:23], v[24:25]
	v_div_scale_f64 v[24:25], vcc, v[18:19], v[14:15], v[18:19]
	v_mul_f64 v[26:27], v[24:25], v[22:23]
	v_fma_f64 v[20:21], -v[20:21], v[26:27], v[24:25]
	s_nop 1
	v_div_fmas_f64 v[20:21], v[20:21], v[22:23], v[26:27]
	v_cmp_nlt_f64_e32 vcc, s[0:1], v[12:13]
	s_andn2_b64 s[0:1], s[10:11], exec
	s_and_b64 s[14:15], vcc, exec
	v_div_fixup_f64 v[14:15], v[20:21], v[14:15], v[18:19]
	s_or_b64 s[0:1], s[0:1], s[14:15]
.LBB7_145:
	s_or_b64 exec, exec, s[12:13]
	s_and_saveexec_b64 s[12:13], s[0:1]
	s_cbranch_execz .LBB7_149
; %bb.146:
	v_mov_b32_e32 v26, 0
	v_mul_f64 v[18:19], v[12:13], v[12:13]
	v_mov_b32_e32 v27, 0x3ff00000
	s_mov_b32 s16, 0
	v_mul_f64 v[20:21], v[12:13], v[18:19]
	s_mov_b64 s[14:15], 0
	s_mov_b32 s17, 0x3cb00000
	v_pk_mov_b32 v[24:25], v[26:27], v[26:27] op_sel:[0,1]
	v_pk_mov_b32 v[22:23], v[12:13], v[12:13] op_sel:[0,1]
	;; [unrolled: 1-line block ×3, first 2 shown]
.LBB7_147:                              ; =>This Inner Loop Header: Depth=1
	v_mul_f64 v[26:27], v[20:21], v[26:27]
	v_add_f64 v[28:29], v[24:25], 1.0
	v_mul_f64 v[12:13], v[20:21], v[12:13]
	v_div_scale_f64 v[30:31], s[0:1], v[28:29], v[28:29], v[26:27]
	v_add_f64 v[34:35], v[28:29], 1.0
	v_rcp_f64_e32 v[36:37], v[30:31]
	v_div_scale_f64 v[38:39], s[0:1], v[34:35], v[34:35], v[12:13]
	v_rcp_f64_e32 v[42:43], v[38:39]
	v_fma_f64 v[44:45], -v[30:31], v[36:37], 1.0
	v_fmac_f64_e32 v[36:37], v[36:37], v[44:45]
	v_fma_f64 v[46:47], -v[30:31], v[36:37], 1.0
	v_fma_f64 v[44:45], -v[38:39], v[42:43], 1.0
	v_fmac_f64_e32 v[42:43], v[42:43], v[44:45]
	v_div_scale_f64 v[32:33], vcc, v[26:27], v[28:29], v[26:27]
	v_fmac_f64_e32 v[36:37], v[36:37], v[46:47]
	v_fma_f64 v[44:45], -v[38:39], v[42:43], 1.0
	v_div_scale_f64 v[40:41], s[0:1], v[12:13], v[34:35], v[12:13]
	v_mul_f64 v[46:47], v[32:33], v[36:37]
	v_fmac_f64_e32 v[42:43], v[42:43], v[44:45]
	v_fma_f64 v[30:31], -v[30:31], v[46:47], v[32:33]
	v_mul_f64 v[32:33], v[40:41], v[42:43]
	v_div_fmas_f64 v[30:31], v[30:31], v[36:37], v[46:47]
	v_fma_f64 v[36:37], -v[38:39], v[32:33], v[40:41]
	s_mov_b64 vcc, s[0:1]
	v_div_fixup_f64 v[26:27], v[30:31], v[28:29], v[26:27]
	v_div_fmas_f64 v[28:29], v[36:37], v[42:43], v[32:33]
	v_div_fixup_f64 v[12:13], v[28:29], v[34:35], v[12:13]
	v_div_scale_f64 v[28:29], s[0:1], v[34:35], v[34:35], v[26:27]
	v_add_f64 v[24:25], v[34:35], 1.0
	v_rcp_f64_e32 v[32:33], v[28:29]
	v_div_scale_f64 v[36:37], s[0:1], v[24:25], v[24:25], v[12:13]
	v_rcp_f64_e32 v[40:41], v[36:37]
	v_fma_f64 v[42:43], -v[28:29], v[32:33], 1.0
	v_fmac_f64_e32 v[32:33], v[32:33], v[42:43]
	v_fma_f64 v[44:45], -v[28:29], v[32:33], 1.0
	v_fma_f64 v[42:43], -v[36:37], v[40:41], 1.0
	v_div_scale_f64 v[30:31], vcc, v[26:27], v[34:35], v[26:27]
	v_fmac_f64_e32 v[40:41], v[40:41], v[42:43]
	v_fmac_f64_e32 v[32:33], v[32:33], v[44:45]
	v_fma_f64 v[42:43], -v[36:37], v[40:41], 1.0
	v_mul_f64 v[44:45], v[30:31], v[32:33]
	v_div_scale_f64 v[38:39], s[0:1], v[12:13], v[24:25], v[12:13]
	v_fmac_f64_e32 v[40:41], v[40:41], v[42:43]
	v_fma_f64 v[28:29], -v[28:29], v[44:45], v[30:31]
	v_mul_f64 v[30:31], v[38:39], v[40:41]
	v_div_fmas_f64 v[28:29], v[28:29], v[32:33], v[44:45]
	v_fma_f64 v[32:33], -v[36:37], v[30:31], v[38:39]
	v_div_fixup_f64 v[26:27], v[28:29], v[34:35], v[26:27]
	s_mov_b64 vcc, s[0:1]
	v_div_fmas_f64 v[28:29], v[32:33], v[40:41], v[30:31]
	v_add_f64 v[18:19], v[18:19], v[26:27]
	v_div_fixup_f64 v[12:13], v[28:29], v[24:25], v[12:13]
	v_div_scale_f64 v[28:29], s[0:1], v[18:19], v[18:19], v[26:27]
	v_rcp_f64_e32 v[30:31], v[28:29]
	v_div_scale_f64 v[32:33], vcc, v[26:27], v[18:19], v[26:27]
	v_add_f64 v[22:23], v[22:23], v[12:13]
	v_fma_f64 v[34:35], -v[28:29], v[30:31], 1.0
	v_fmac_f64_e32 v[30:31], v[30:31], v[34:35]
	v_fma_f64 v[34:35], -v[28:29], v[30:31], 1.0
	v_fmac_f64_e32 v[30:31], v[30:31], v[34:35]
	v_mul_f64 v[34:35], v[32:33], v[30:31]
	v_fma_f64 v[28:29], -v[28:29], v[34:35], v[32:33]
	v_div_fmas_f64 v[28:29], v[28:29], v[30:31], v[34:35]
	v_div_fixup_f64 v[28:29], v[28:29], v[18:19], v[26:27]
	v_cmp_ngt_f64_e64 s[0:1], |v[28:29]|, s[16:17]
	s_or_b64 s[14:15], s[0:1], s[14:15]
	s_andn2_b64 exec, exec, s[14:15]
	s_cbranch_execnz .LBB7_147
; %bb.148:
	s_or_b64 exec, exec, s[14:15]
	s_mov_b32 s0, 0x42b70f8b
	s_mov_b32 s1, 0xbfd0907f
	v_mul_f64 v[12:13], v[22:23], s[0:1]
	s_mov_b32 s0, 0x962715b8
	s_mov_b32 s1, 0x3fd6b8c7
	v_fmac_f64_e32 v[12:13], s[0:1], v[18:19]
	v_cndmask_b32_e64 v15, v15, v13, s[10:11]
	v_cndmask_b32_e64 v14, v14, v12, s[10:11]
.LBB7_149:
	s_or_b64 exec, exec, s[12:13]
                                        ; implicit-def: $vgpr12_vgpr13
.LBB7_150:
	s_andn2_saveexec_b64 s[8:9], s[8:9]
	s_cbranch_execz .LBB7_160
; %bb.151:
	s_mov_b32 s0, 0
	s_brev_b32 s1, 9
	v_cmp_lt_f64_e32 vcc, s[0:1], v[12:13]
	v_cndmask_b32_e64 v1, 0, 1, vcc
	v_lshlrev_b32_e32 v1, 8, v1
	v_ldexp_f64 v[14:15], -v[12:13], v1
	v_rsq_f64_e32 v[18:19], v[14:15]
	v_mul_f64 v[20:21], v[12:13], -2.0
	v_mov_b32_e32 v1, 0xffffff80
	v_cndmask_b32_e32 v1, 0, v1, vcc
	v_mul_f64 v[12:13], v[14:15], v[18:19]
	v_mul_f64 v[18:19], v[18:19], 0.5
	v_fma_f64 v[22:23], -v[18:19], v[12:13], 0.5
	v_fmac_f64_e32 v[12:13], v[12:13], v[22:23]
	v_fma_f64 v[24:25], -v[12:13], v[12:13], v[14:15]
	v_fmac_f64_e32 v[18:19], v[18:19], v[22:23]
	v_fmac_f64_e32 v[12:13], v[24:25], v[18:19]
	v_fma_f64 v[22:23], -v[12:13], v[12:13], v[14:15]
	v_fmac_f64_e32 v[12:13], v[22:23], v[18:19]
	v_ldexp_f64 v[12:13], v[12:13], v1
	v_mov_b32_e32 v1, 0x260
	v_cmp_class_f64_e32 vcc, v[14:15], v1
	v_cndmask_b32_e32 v13, v13, v15, vcc
	v_cndmask_b32_e32 v12, v12, v14, vcc
	s_mov_b32 s10, 0
	v_mul_f64 v[14:15], v[20:21], v[12:13]
	s_mov_b32 s11, 0x40080000
	v_div_scale_f64 v[18:19], s[0:1], s[10:11], s[10:11], v[14:15]
	v_rcp_f64_e32 v[20:21], v[18:19]
	s_mov_b32 s13, 0x3fe921fb
	s_mov_b32 s12, 0x54442d18
	s_movk_i32 s0, 0xff80
	v_fma_f64 v[22:23], -v[18:19], v[20:21], 1.0
	v_fmac_f64_e32 v[20:21], v[20:21], v[22:23]
	v_fma_f64 v[22:23], -v[18:19], v[20:21], 1.0
	v_fmac_f64_e32 v[20:21], v[20:21], v[22:23]
	v_div_scale_f64 v[22:23], vcc, v[14:15], s[10:11], v[14:15]
	v_mul_f64 v[24:25], v[22:23], v[20:21]
	v_fma_f64 v[18:19], -v[18:19], v[24:25], v[22:23]
                                        ; implicit-def: $vgpr3
                                        ; implicit-def: $vgpr26_vgpr27
	s_nop 1
	v_div_fmas_f64 v[18:19], v[18:19], v[20:21], v[24:25]
	v_div_fixup_f64 v[22:23], v[18:19], s[10:11], v[14:15]
	s_mov_b32 s10, 0
	v_add_f64 v[14:15], v[22:23], s[12:13]
	s_mov_b32 s11, 0x41d00000
	v_cmp_nlt_f64_e64 s[10:11], |v[14:15]|, s[10:11]
                                        ; implicit-def: $vgpr24_vgpr25
	s_and_saveexec_b64 s[14:15], s[10:11]
	s_xor_b64 s[14:15], exec, s[14:15]
	s_cbranch_execz .LBB7_153
; %bb.152:
	s_mov_b32 s16, 0
	s_mov_b32 s17, 0x7b000000
	v_and_b32_e32 v1, 0x7fffffff, v15
	v_ldexp_f64 v[24:25], |v[14:15]|, s0
	v_cmp_ge_f64_e64 vcc, |v[14:15]|, s[16:17]
	v_trig_preop_f64 v[18:19], |v[14:15]|, 0
	v_cndmask_b32_e32 v25, v1, v25, vcc
	v_cndmask_b32_e32 v24, v14, v24, vcc
	v_trig_preop_f64 v[20:21], |v[14:15]|, 1
	v_mul_f64 v[28:29], v[18:19], v[24:25]
	v_mul_f64 v[26:27], v[20:21], v[24:25]
	v_fma_f64 v[18:19], v[18:19], v[24:25], -v[28:29]
	v_add_f64 v[30:31], v[26:27], v[18:19]
	v_add_f64 v[32:33], v[28:29], v[30:31]
	s_mov_b32 s0, 0
	v_ldexp_f64 v[34:35], v[32:33], -2
	s_mov_b32 s1, 0x7ff00000
	v_fract_f64_e32 v[36:37], v[34:35]
	v_cmp_neq_f64_e64 vcc, |v[34:35]|, s[0:1]
	v_cndmask_b32_e32 v35, 0, v37, vcc
	v_cndmask_b32_e32 v34, 0, v36, vcc
	v_add_f64 v[36:37], v[30:31], -v[26:27]
	v_add_f64 v[18:19], v[18:19], -v[36:37]
	;; [unrolled: 1-line block ×4, first 2 shown]
	v_fma_f64 v[20:21], v[20:21], v[24:25], -v[26:27]
	v_trig_preop_f64 v[26:27], |v[14:15]|, 2
	v_add_f64 v[18:19], v[18:19], v[36:37]
	v_mul_f64 v[36:37], v[26:27], v[24:25]
	v_add_f64 v[40:41], v[36:37], v[20:21]
	v_add_f64 v[42:43], v[40:41], v[18:19]
	v_add_f64 v[28:29], v[32:33], -v[28:29]
	v_add_f64 v[32:33], v[42:43], -v[40:41]
	;; [unrolled: 1-line block ×5, first 2 shown]
	v_add_f64 v[18:19], v[18:19], v[32:33]
	v_add_f64 v[32:33], v[40:41], -v[36:37]
	v_add_f64 v[20:21], v[20:21], -v[32:33]
	;; [unrolled: 1-line block ×4, first 2 shown]
	v_add_f64 v[20:21], v[20:21], v[32:33]
	v_add_f64 v[28:29], v[30:31], -v[28:29]
	v_add_f64 v[18:19], v[20:21], v[18:19]
	v_fma_f64 v[20:21], v[26:27], v[24:25], -v[36:37]
	v_add_f64 v[30:31], v[28:29], v[42:43]
	v_add_f64 v[18:19], v[20:21], v[18:19]
	v_ldexp_f64 v[20:21], v[34:35], 2
	v_add_f64 v[24:25], v[30:31], v[20:21]
	v_mov_b32_e32 v1, 0x40100000
	v_cmp_gt_f64_e32 vcc, 0, v[24:25]
	v_mov_b32_e32 v38, 0
	v_cndmask_b32_e32 v39, 0, v1, vcc
	v_add_f64 v[20:21], v[20:21], v[38:39]
	v_add_f64 v[24:25], v[30:31], v[20:21]
	v_cvt_i32_f64_e32 v1, v[24:25]
	v_cvt_f64_i32_e32 v[24:25], v1
	v_add_f64 v[20:21], v[20:21], -v[24:25]
	v_add_f64 v[24:25], v[30:31], v[20:21]
	v_add_f64 v[28:29], v[30:31], -v[28:29]
	v_cmp_le_f64_e32 vcc, 0.5, v[24:25]
	v_add_f64 v[28:29], v[42:43], -v[28:29]
	v_add_f64 v[20:21], v[24:25], -v[20:21]
	v_addc_co_u32_e64 v3, s[0:1], 0, v1, vcc
	v_mov_b32_e32 v1, 0x3ff00000
	v_add_f64 v[18:19], v[28:29], v[18:19]
	v_add_f64 v[20:21], v[30:31], -v[20:21]
	v_cndmask_b32_e32 v39, 0, v1, vcc
	v_add_f64 v[18:19], v[18:19], v[20:21]
	v_add_f64 v[20:21], v[24:25], -v[38:39]
	v_add_f64 v[24:25], v[20:21], v[18:19]
	v_add_f64 v[20:21], v[24:25], -v[20:21]
	s_mov_b32 s13, 0x3ff921fb
	v_add_f64 v[18:19], v[18:19], -v[20:21]
	v_mul_f64 v[20:21], v[24:25], s[12:13]
	s_mov_b32 s0, 0x33145c07
	v_fma_f64 v[26:27], v[24:25], s[12:13], -v[20:21]
	s_mov_b32 s1, 0x3c91a626
	v_fmac_f64_e32 v[26:27], s[0:1], v[24:25]
	v_fmac_f64_e32 v[26:27], s[12:13], v[18:19]
	v_add_f64 v[24:25], v[20:21], v[26:27]
	v_add_f64 v[18:19], v[24:25], -v[20:21]
	v_add_f64 v[26:27], v[26:27], -v[18:19]
	s_andn2_saveexec_b64 s[0:1], s[14:15]
	s_cbranch_execz .LBB7_155
	s_branch .LBB7_154
.LBB7_153:
	s_andn2_saveexec_b64 s[0:1], s[14:15]
	s_cbranch_execz .LBB7_155
.LBB7_154:
	s_mov_b32 s12, 0x6dc9c883
	s_mov_b32 s13, 0x3fe45f30
	v_mul_f64 v[18:19], |v[14:15]|, s[12:13]
	s_mov_b32 s12, 0x54442d18
	v_rndne_f64_e32 v[18:19], v[18:19]
	s_mov_b32 s13, 0xbff921fb
	v_fma_f64 v[20:21], v[18:19], s[12:13], |v[14:15]|
	s_mov_b32 s13, 0xbc91a626
	s_mov_b32 s12, 0x33145c00
	v_mul_f64 v[24:25], v[18:19], s[12:13]
	v_add_f64 v[30:31], v[20:21], v[24:25]
	v_fma_f64 v[26:27], s[12:13], v[18:19], v[20:21]
	s_mov_b32 s13, 0x3c91a626
	v_add_f64 v[20:21], v[20:21], -v[30:31]
	v_fma_f64 v[28:29], s[12:13], v[18:19], v[24:25]
	v_add_f64 v[20:21], v[20:21], v[24:25]
	v_add_f64 v[24:25], v[30:31], -v[26:27]
	v_add_f64 v[20:21], v[24:25], v[20:21]
	s_mov_b32 s12, 0x252049c0
	v_add_f64 v[20:21], v[20:21], -v[28:29]
	s_mov_b32 s13, 0xb97b839a
	v_fmac_f64_e32 v[20:21], s[12:13], v[18:19]
	v_add_f64 v[24:25], v[26:27], v[20:21]
	v_add_f64 v[26:27], v[24:25], -v[26:27]
	v_add_f64 v[26:27], v[20:21], -v[26:27]
	v_cvt_i32_f64_e32 v3, v[18:19]
.LBB7_155:
	s_or_b64 exec, exec, s[0:1]
                                        ; implicit-def: $vgpr1
                                        ; implicit-def: $vgpr18_vgpr19
                                        ; implicit-def: $vgpr20_vgpr21
	s_and_saveexec_b64 s[0:1], s[10:11]
	s_xor_b64 s[10:11], exec, s[0:1]
	s_cbranch_execz .LBB7_157
; %bb.156:
	s_mov_b32 s0, 0
	s_mov_b32 s1, 0x7b000000
	s_movk_i32 s12, 0xff80
	v_and_b32_e32 v1, 0x7fffffff, v15
	v_ldexp_f64 v[28:29], |v[14:15]|, s12
	v_cmp_ge_f64_e64 vcc, |v[14:15]|, s[0:1]
	v_trig_preop_f64 v[18:19], |v[14:15]|, 0
	v_cndmask_b32_e32 v29, v1, v29, vcc
	v_cndmask_b32_e32 v28, v14, v28, vcc
	v_trig_preop_f64 v[20:21], |v[14:15]|, 1
	v_mul_f64 v[32:33], v[18:19], v[28:29]
	v_mul_f64 v[30:31], v[20:21], v[28:29]
	v_fma_f64 v[18:19], v[18:19], v[28:29], -v[32:33]
	v_add_f64 v[34:35], v[30:31], v[18:19]
	v_add_f64 v[36:37], v[32:33], v[34:35]
	s_mov_b32 s0, 0
	v_ldexp_f64 v[38:39], v[36:37], -2
	s_mov_b32 s1, 0x7ff00000
	v_fract_f64_e32 v[40:41], v[38:39]
	v_cmp_neq_f64_e64 vcc, |v[38:39]|, s[0:1]
	v_cndmask_b32_e32 v39, 0, v41, vcc
	v_cndmask_b32_e32 v38, 0, v40, vcc
	v_add_f64 v[40:41], v[34:35], -v[30:31]
	v_add_f64 v[18:19], v[18:19], -v[40:41]
	;; [unrolled: 1-line block ×4, first 2 shown]
	v_fma_f64 v[20:21], v[20:21], v[28:29], -v[30:31]
	v_trig_preop_f64 v[30:31], |v[14:15]|, 2
	v_add_f64 v[18:19], v[18:19], v[40:41]
	v_mul_f64 v[40:41], v[30:31], v[28:29]
	v_add_f64 v[44:45], v[40:41], v[20:21]
	v_add_f64 v[46:47], v[44:45], v[18:19]
	v_add_f64 v[32:33], v[36:37], -v[32:33]
	v_add_f64 v[36:37], v[46:47], -v[44:45]
	v_add_f64 v[18:19], v[18:19], -v[36:37]
	v_add_f64 v[36:37], v[46:47], -v[36:37]
	v_add_f64 v[36:37], v[44:45], -v[36:37]
	v_add_f64 v[18:19], v[18:19], v[36:37]
	v_add_f64 v[36:37], v[44:45], -v[40:41]
	v_add_f64 v[20:21], v[20:21], -v[36:37]
	;; [unrolled: 1-line block ×4, first 2 shown]
	v_add_f64 v[20:21], v[20:21], v[36:37]
	v_add_f64 v[32:33], v[34:35], -v[32:33]
	v_add_f64 v[18:19], v[20:21], v[18:19]
	v_fma_f64 v[20:21], v[30:31], v[28:29], -v[40:41]
	v_add_f64 v[34:35], v[32:33], v[46:47]
	v_add_f64 v[18:19], v[20:21], v[18:19]
	v_ldexp_f64 v[20:21], v[38:39], 2
	v_add_f64 v[28:29], v[34:35], v[20:21]
	v_mov_b32_e32 v1, 0x40100000
	v_cmp_gt_f64_e32 vcc, 0, v[28:29]
	v_mov_b32_e32 v42, 0
	v_cndmask_b32_e32 v43, 0, v1, vcc
	v_add_f64 v[20:21], v[20:21], v[42:43]
	v_add_f64 v[28:29], v[34:35], v[20:21]
	v_cvt_i32_f64_e32 v1, v[28:29]
	v_cvt_f64_i32_e32 v[28:29], v1
	v_add_f64 v[20:21], v[20:21], -v[28:29]
	v_add_f64 v[32:33], v[34:35], -v[32:33]
	v_add_f64 v[28:29], v[34:35], v[20:21]
	v_add_f64 v[32:33], v[46:47], -v[32:33]
	v_add_f64 v[20:21], v[28:29], -v[20:21]
	v_cmp_le_f64_e32 vcc, 0.5, v[28:29]
	v_mov_b32_e32 v5, 0x3ff00000
	v_add_f64 v[18:19], v[32:33], v[18:19]
	v_add_f64 v[20:21], v[34:35], -v[20:21]
	v_cndmask_b32_e32 v43, 0, v5, vcc
	v_add_f64 v[18:19], v[18:19], v[20:21]
	v_addc_co_u32_e64 v1, s[0:1], 0, v1, vcc
	v_add_f64 v[20:21], v[28:29], -v[42:43]
	v_add_f64 v[28:29], v[20:21], v[18:19]
	s_mov_b32 s0, 0x54442d18
	v_add_f64 v[20:21], v[28:29], -v[20:21]
	s_mov_b32 s1, 0x3ff921fb
	v_add_f64 v[18:19], v[18:19], -v[20:21]
	v_mul_f64 v[20:21], v[28:29], s[0:1]
	s_mov_b32 s12, 0x33145c07
	v_fma_f64 v[30:31], v[28:29], s[0:1], -v[20:21]
	s_mov_b32 s13, 0x3c91a626
	v_fmac_f64_e32 v[30:31], s[12:13], v[28:29]
	v_fmac_f64_e32 v[30:31], s[0:1], v[18:19]
	v_add_f64 v[18:19], v[20:21], v[30:31]
	v_add_f64 v[20:21], v[18:19], -v[20:21]
	v_add_f64 v[20:21], v[30:31], -v[20:21]
	s_andn2_saveexec_b64 s[0:1], s[10:11]
	s_cbranch_execnz .LBB7_158
	s_branch .LBB7_159
.LBB7_157:
	s_andn2_saveexec_b64 s[0:1], s[10:11]
	s_cbranch_execz .LBB7_159
.LBB7_158:
	s_mov_b32 s10, 0x6dc9c883
	s_mov_b32 s11, 0x3fe45f30
	v_mul_f64 v[18:19], |v[14:15]|, s[10:11]
	s_mov_b32 s10, 0x54442d18
	v_rndne_f64_e32 v[28:29], v[18:19]
	s_mov_b32 s11, 0xbff921fb
	v_fma_f64 v[18:19], v[28:29], s[10:11], |v[14:15]|
	s_mov_b32 s11, 0xbc91a626
	s_mov_b32 s10, 0x33145c00
	v_mul_f64 v[30:31], v[28:29], s[10:11]
	v_add_f64 v[34:35], v[18:19], v[30:31]
	v_fma_f64 v[20:21], s[10:11], v[28:29], v[18:19]
	s_mov_b32 s11, 0x3c91a626
	v_add_f64 v[18:19], v[18:19], -v[34:35]
	v_fma_f64 v[32:33], s[10:11], v[28:29], v[30:31]
	v_add_f64 v[18:19], v[18:19], v[30:31]
	v_add_f64 v[30:31], v[34:35], -v[20:21]
	v_add_f64 v[18:19], v[30:31], v[18:19]
	s_mov_b32 s10, 0x252049c0
	v_add_f64 v[30:31], v[18:19], -v[32:33]
	s_mov_b32 s11, 0xb97b839a
	v_fmac_f64_e32 v[30:31], s[10:11], v[28:29]
	v_add_f64 v[18:19], v[20:21], v[30:31]
	v_add_f64 v[20:21], v[18:19], -v[20:21]
	v_add_f64 v[20:21], v[30:31], -v[20:21]
	v_cvt_i32_f64_e32 v1, v[28:29]
.LBB7_159:
	s_or_b64 exec, exec, s[0:1]
	v_div_scale_f64 v[28:29], s[0:1], v[22:23], v[22:23], 1.0
	v_rcp_f64_e32 v[30:31], v[28:29]
	v_div_scale_f64 v[32:33], vcc, 1.0, v[22:23], 1.0
	v_mov_b32_e32 v36, 0xaf76e73b
	v_fma_f64 v[34:35], -v[28:29], v[30:31], 1.0
	v_fmac_f64_e32 v[30:31], v[30:31], v[34:35]
	v_fma_f64 v[34:35], -v[28:29], v[30:31], 1.0
	v_fmac_f64_e32 v[30:31], v[30:31], v[34:35]
	v_mul_f64 v[34:35], v[32:33], v[30:31]
	v_fma_f64 v[28:29], -v[28:29], v[34:35], v[32:33]
	v_div_fmas_f64 v[28:29], v[28:29], v[30:31], v[34:35]
	v_div_fixup_f64 v[22:23], v[28:29], v[22:23], 1.0
	v_mul_f64 v[28:29], v[22:23], v[22:23]
	v_mov_b32_e32 v30, 0xd50ae6fb
	v_mov_b32_e32 v31, 0xbfc0db6c
	v_fmac_f64_e32 v[30:31], 0, v[28:29]
	v_mov_b32_e32 v32, 0x98566852
	v_mov_b32_e32 v33, 0xbfe40bee
	v_fmac_f64_e32 v[32:33], v[28:29], v[30:31]
	;; [unrolled: 3-line block ×15, first 2 shown]
	v_mov_b32_e32 v37, 0x3f13c8d7
	v_fmac_f64_e32 v[36:37], v[28:29], v[30:31]
	v_mov_b32_e32 v34, 0xb99518a7
	v_mov_b32_e32 v35, 0x3e9e52b9
	v_mul_f64 v[38:39], v[24:25], v[24:25]
	v_fmac_f64_e32 v[34:35], v[28:29], v[36:37]
	v_mov_b32_e32 v36, 0xf68ea2d2
	v_mov_b32_e32 v37, 0xbe52041c
	v_mul_f64 v[30:31], v[38:39], 0.5
	v_fmac_f64_e32 v[36:37], v[28:29], v[32:33]
	v_add_f64 v[32:33], -v[30:31], 1.0
	s_mov_b32 s0, 0x9037ab78
	v_add_f64 v[40:41], -v[32:33], 1.0
	s_mov_b32 s1, 0x3e21eeb6
	s_mov_b32 s10, 0x46cc5e42
	v_add_f64 v[40:41], v[40:41], -v[30:31]
	s_mov_b32 s11, 0xbda907db
	v_pk_mov_b32 v[30:31], s[0:1], s[0:1] op_sel:[0,1]
	s_mov_b32 s12, 0xa17f65f6
	v_fma_f64 v[44:45], s[10:11], v[38:39], v[30:31]
	s_mov_b32 s13, 0xbe927e4f
	s_mov_b32 s14, 0x19f4ec90
	v_fma_f64 v[44:45], v[38:39], v[44:45], s[12:13]
	s_mov_b32 s15, 0x3efa01a0
	;; [unrolled: 3-line block ×4, first 2 shown]
	v_mul_f64 v[42:43], v[38:39], v[38:39]
	v_fma_f64 v[44:45], v[38:39], v[44:45], s[18:19]
	v_fma_f64 v[40:41], v[24:25], -v[26:27], v[40:41]
	s_mov_b32 s0, 0xb42fdfa7
	v_fmac_f64_e32 v[40:41], v[42:43], v[44:45]
	s_mov_b32 s1, 0xbe5ae600
	s_mov_b32 s20, 0xf9a43bb8
	v_add_f64 v[40:41], v[32:33], v[40:41]
	s_mov_b32 s21, 0x3de5e0b2
	v_pk_mov_b32 v[32:33], s[0:1], s[0:1] op_sel:[0,1]
	s_mov_b32 s22, 0x796cde01
	v_fma_f64 v[42:43], s[20:21], v[38:39], v[32:33]
	s_mov_b32 s23, 0x3ec71de3
	s_mov_b32 s24, 0x19e83e5c
	v_fma_f64 v[42:43], v[38:39], v[42:43], s[22:23]
	s_mov_b32 s25, 0xbf2a01a0
	;; [unrolled: 3-line block ×3, first 2 shown]
	v_fma_f64 v[42:43], v[38:39], v[42:43], s[26:27]
	v_mul_f64 v[44:45], v[24:25], -v[38:39]
	v_mul_f64 v[46:47], v[26:27], 0.5
	v_fmac_f64_e32 v[46:47], v[44:45], v[42:43]
	v_fma_f64 v[26:27], v[38:39], v[46:47], -v[26:27]
	s_mov_b32 s29, 0xbfc55555
	s_mov_b32 s28, s18
	v_fmac_f64_e32 v[26:27], s[28:29], v[44:45]
	v_and_b32_e32 v5, 1, v3
	v_add_f64 v[24:25], v[24:25], -v[26:27]
	v_cmp_eq_u32_e32 vcc, 0, v5
	v_cndmask_b32_e32 v5, v40, v24, vcc
	v_cndmask_b32_e32 v7, v41, v25, vcc
	v_mul_f64 v[24:25], v[28:29], v[36:37]
	v_div_scale_f64 v[26:27], s[0:1], v[34:35], v[34:35], v[24:25]
	v_rcp_f64_e32 v[36:37], v[26:27]
	v_lshlrev_b32_e32 v3, 30, v3
	s_movk_i32 s30, 0x1f8
	v_xor_b32_e32 v3, v3, v15
	v_fma_f64 v[38:39], -v[26:27], v[36:37], 1.0
	v_fmac_f64_e32 v[36:37], v[36:37], v[38:39]
	v_fma_f64 v[38:39], -v[26:27], v[36:37], 1.0
	v_fmac_f64_e32 v[36:37], v[36:37], v[38:39]
	v_div_scale_f64 v[38:39], vcc, v[24:25], v[34:35], v[24:25]
	v_mul_f64 v[40:41], v[38:39], v[36:37]
	v_fma_f64 v[26:27], -v[26:27], v[40:41], v[38:39]
	v_cmp_class_f64_e64 s[0:1], v[14:15], s30
	s_nop 0
	v_div_fmas_f64 v[26:27], v[26:27], v[36:37], v[40:41]
	v_div_fixup_f64 v[24:25], v[26:27], v[34:35], v[24:25]
	v_mov_b32_e32 v26, 0xddcfbbde
	v_mov_b32_e32 v27, 0x3f943525
	v_fmac_f64_e32 v[26:27], 0, v[28:29]
	v_mov_b32_e32 v34, 0x6437b7
	v_mov_b32_e32 v35, 0x3fd907d5
	v_fmac_f64_e32 v[34:35], v[28:29], v[26:27]
	;; [unrolled: 3-line block ×13, first 2 shown]
	v_mov_b32_e32 v34, 0x7ea7dc35
	v_mov_b32_e32 v35, 0x402f211b
	s_mov_b32 s30, 0
	v_and_b32_e32 v3, 0x80000000, v3
	v_fmac_f64_e32 v[34:35], v[28:29], v[36:37]
	v_mov_b32_e32 v36, 0x2b79dbce
	v_mov_b32_e32 v37, 0x4015e84e
	s_brev_b32 s31, 8
	v_xor_b32_e32 v3, v7, v3
	v_cndmask_b32_e64 v14, 0, v5, s[0:1]
	v_mov_b32_e32 v5, 0x7ff80000
	v_fmac_f64_e32 v[36:37], v[28:29], v[34:35]
	v_mov_b32_e32 v34, 0xc195ece3
	v_mov_b32_e32 v35, 0x3fee8992
	v_cmp_gt_f64_e32 vcc, s[30:31], v[12:13]
	v_cndmask_b32_e64 v15, v5, v3, s[0:1]
	v_fmac_f64_e32 v[34:35], v[28:29], v[36:37]
	v_mov_b32_e32 v36, 0xed64a9ee
	v_mov_b32_e32 v37, 0x3fb6221d
	v_cndmask_b32_e64 v3, 0, 1, vcc
	v_fmac_f64_e32 v[36:37], v[28:29], v[34:35]
	v_mov_b32_e32 v34, 0x6be393bb
	v_mov_b32_e32 v35, 0x3f70e704
	v_lshlrev_b32_e32 v3, 8, v3
	v_fmac_f64_e32 v[34:35], v[28:29], v[36:37]
	v_mov_b32_e32 v36, 0xd603a5a0
	v_mov_b32_e32 v37, 0x3f1a8b61
	v_ldexp_f64 v[12:13], v[12:13], v3
	v_fmac_f64_e32 v[36:37], v[28:29], v[34:35]
	v_rsq_f64_e32 v[34:35], v[12:13]
	v_mov_b32_e32 v38, 0xdb0724e8
	v_mov_b32_e32 v39, 0x3eb3a845
	v_fmac_f64_e32 v[38:39], v[28:29], v[36:37]
	v_mul_f64 v[36:37], v[12:13], v[34:35]
	v_mul_f64 v[34:35], v[34:35], 0.5
	v_fma_f64 v[40:41], -v[34:35], v[36:37], 0.5
	v_fmac_f64_e32 v[36:37], v[36:37], v[40:41]
	v_fma_f64 v[42:43], -v[36:37], v[36:37], v[12:13]
	v_fmac_f64_e32 v[34:35], v[34:35], v[40:41]
	v_fmac_f64_e32 v[36:37], v[42:43], v[34:35]
	v_fma_f64 v[40:41], -v[36:37], v[36:37], v[12:13]
	v_mov_b32_e32 v3, 0xffffff80
	v_fmac_f64_e32 v[36:37], v[40:41], v[34:35]
	v_cndmask_b32_e32 v3, 0, v3, vcc
	v_ldexp_f64 v[34:35], v[36:37], v3
	v_mov_b32_e32 v3, 0x260
	v_cmp_class_f64_e32 vcc, v[12:13], v3
	s_mov_b32 s30, 0x50429b6d
	v_cndmask_b32_e32 v13, v35, v13, vcc
	v_cndmask_b32_e32 v12, v34, v12, vcc
	s_mov_b32 s31, 0x3fe20dd7
	v_div_scale_f64 v[34:35], s[34:35], v[12:13], v[12:13], s[30:31]
	v_rcp_f64_e32 v[36:37], v[34:35]
	v_mov_b32_e32 v40, 0x3dd589d4
	v_mov_b32_e32 v41, 0x3e351fc7
	v_fmac_f64_e32 v[40:41], v[28:29], v[38:39]
	v_fma_f64 v[28:29], -v[34:35], v[36:37], 1.0
	v_fmac_f64_e32 v[36:37], v[36:37], v[28:29]
	v_fma_f64 v[28:29], -v[34:35], v[36:37], 1.0
	v_fmac_f64_e32 v[36:37], v[36:37], v[28:29]
	v_div_scale_f64 v[28:29], vcc, s[30:31], v[12:13], s[30:31]
	v_mul_f64 v[38:39], v[28:29], v[36:37]
	v_fma_f64 v[28:29], -v[34:35], v[38:39], v[28:29]
	v_and_b32_e32 v7, 1, v1
	s_nop 0
	v_div_fmas_f64 v[28:29], v[28:29], v[36:37], v[38:39]
	v_div_fixup_f64 v[12:13], v[28:29], v[12:13], s[30:31]
	v_mul_f64 v[28:29], v[18:19], v[18:19]
	v_mul_f64 v[34:35], v[28:29], 0.5
	v_fmac_f64_e32 v[30:31], s[10:11], v[28:29]
	v_add_f64 v[36:37], -v[34:35], 1.0
	v_fma_f64 v[30:31], v[28:29], v[30:31], s[12:13]
	v_add_f64 v[38:39], -v[36:37], 1.0
	v_fma_f64 v[30:31], v[28:29], v[30:31], s[14:15]
	v_add_f64 v[34:35], v[38:39], -v[34:35]
	v_fma_f64 v[30:31], v[28:29], v[30:31], s[16:17]
	v_fmac_f64_e32 v[32:33], s[20:21], v[28:29]
	v_mul_f64 v[38:39], v[28:29], v[28:29]
	v_fma_f64 v[30:31], v[28:29], v[30:31], s[18:19]
	v_fma_f64 v[34:35], v[18:19], -v[20:21], v[34:35]
	v_fma_f64 v[32:33], v[28:29], v[32:33], s[22:23]
	v_fmac_f64_e32 v[34:35], v[38:39], v[30:31]
	v_fma_f64 v[32:33], v[28:29], v[32:33], s[24:25]
	v_add_f64 v[30:31], v[36:37], v[34:35]
	v_fma_f64 v[32:33], v[28:29], v[32:33], s[26:27]
	v_mul_f64 v[34:35], v[18:19], -v[28:29]
	v_mul_f64 v[36:37], v[20:21], 0.5
	v_fmac_f64_e32 v[36:37], v[34:35], v[32:33]
	v_fma_f64 v[20:21], v[28:29], v[36:37], -v[20:21]
	v_fmac_f64_e32 v[20:21], s[28:29], v[34:35]
	v_add_f64 v[18:19], v[18:19], -v[20:21]
	v_cmp_eq_u32_e32 vcc, 0, v7
	v_xor_b32_e32 v3, 0x80000000, v19
	v_cndmask_b32_e32 v7, v18, v30, vcc
	v_mul_f64 v[18:19], v[22:23], v[26:27]
	v_div_scale_f64 v[20:21], s[10:11], v[40:41], v[40:41], v[18:19]
	v_rcp_f64_e32 v[22:23], v[20:21]
	v_cndmask_b32_e32 v3, v3, v31, vcc
	v_lshlrev_b32_e32 v1, 30, v1
	v_and_b32_e32 v1, 0x80000000, v1
	v_fma_f64 v[28:29], -v[20:21], v[22:23], 1.0
	v_fmac_f64_e32 v[22:23], v[22:23], v[28:29]
	v_fma_f64 v[28:29], -v[20:21], v[22:23], 1.0
	v_fmac_f64_e32 v[22:23], v[22:23], v[28:29]
	v_div_scale_f64 v[28:29], vcc, v[18:19], v[40:41], v[18:19]
	v_mul_f64 v[30:31], v[28:29], v[22:23]
	v_fma_f64 v[20:21], -v[20:21], v[30:31], v[28:29]
	v_xor_b32_e32 v1, v3, v1
	s_nop 0
	v_div_fmas_f64 v[20:21], v[20:21], v[22:23], v[30:31]
	v_cndmask_b32_e64 v26, 0, v7, s[0:1]
	v_cndmask_b32_e64 v27, v5, v1, s[0:1]
	v_div_fixup_f64 v[18:19], v[20:21], v[40:41], v[18:19]
	v_add_f64 v[24:25], v[24:25], 1.0
	v_mul_f64 v[18:19], v[18:19], v[26:27]
	v_fma_f64 v[14:15], v[24:25], v[14:15], -v[18:19]
	v_mul_f64 v[14:15], v[12:13], v[14:15]
.LBB7_160:
	s_or_b64 exec, exec, s[8:9]
.LBB7_161:
	s_or_b64 exec, exec, s[6:7]
.LBB7_162:
	s_or_b64 exec, exec, s[2:3]
	global_store_dwordx2 v0, v[10:11], s[4:5]
	global_store_dwordx2 v2, v[8:9], s[4:5]
	;; [unrolled: 1-line block ×4, first 2 shown]
	s_endpgm
.LBB7_163:
	s_mov_b32 s51, s50
	v_pk_mov_b32 v[0:1], s[50:51], s[50:51] op_sel:[0,1]
                                        ; implicit-def: $vgpr2
	v_mov_b32_e32 v3, v24
.LBB7_164:
	s_and_b32 s8, s56, 3
	s_cmp_eq_u32 s8, 0
	s_cbranch_scc1 .LBB7_168
; %bb.165:
	s_lshl_b32 s0, s50, 3
	s_add_u32 s0, s0, s4
	s_addc_u32 s1, s5, 0
	s_add_u32 s0, s0, 0xc4
	s_addc_u32 s1, s1, 0
	s_mul_i32 s2, s50, 12
	s_add_u32 s2, s4, s2
	s_addc_u32 s3, s5, 0
.LBB7_166:                              ; =>This Inner Loop Header: Depth=1
	s_load_dwordx2 s[10:11], s[2:3], 0x4
	s_load_dword s9, s[2:3], 0xc
	s_load_dwordx2 s[12:13], s[0:1], 0x0
	v_mov_b32_e32 v2, v1
	s_add_u32 s2, s2, 12
	s_waitcnt lgkmcnt(0)
	v_mul_hi_u32 v1, s11, v3
	v_add_u32_e32 v1, v3, v1
	v_lshrrev_b32_e32 v1, s9, v1
	s_addc_u32 s3, s3, 0
	v_mul_lo_u32 v4, v1, s10
	s_add_u32 s0, s0, 8
	v_sub_u32_e32 v6, v3, v4
	v_mov_b32_e32 v3, v1
	s_addc_u32 s1, s1, 0
	s_add_i32 s8, s8, -1
	v_mad_u64_u32 v[4:5], s[10:11], v6, s13, v[2:3]
	v_mad_u64_u32 v[0:1], s[10:11], v6, s12, v[0:1]
	s_cmp_lg_u32 s8, 0
	v_mov_b32_e32 v1, v4
	s_cbranch_scc1 .LBB7_166
; %bb.167:
	v_mov_b32_e32 v2, v1
.LBB7_168:
	s_cbranch_execnz .LBB7_171
.LBB7_169:
	s_waitcnt lgkmcnt(0)
	v_mul_hi_u32 v0, s37, v24
	v_add_u32_e32 v0, v24, v0
	v_lshrrev_b32_e32 v1, s38, v0
	v_mul_lo_u32 v0, v1, s36
	v_sub_u32_e32 v0, v24, v0
	v_mul_lo_u32 v2, v0, s29
	s_andn2_b64 vcc, exec, s[42:43]
	v_mul_lo_u32 v0, v0, s28
	s_cbranch_vccnz .LBB7_171
; %bb.170:
	v_mul_hi_u32 v3, s40, v1
	v_add_u32_e32 v3, v1, v3
	v_lshrrev_b32_e32 v3, s41, v3
	v_mul_lo_u32 v3, v3, s39
	v_sub_u32_e32 v3, v1, v3
	v_mad_u64_u32 v[0:1], s[0:1], v3, s30, v[0:1]
	v_mad_u64_u32 v[2:3], s[0:1], v3, s31, v[2:3]
.LBB7_171:
	s_waitcnt lgkmcnt(0)
	global_load_dwordx2 v[2:3], v2, s[26:27]
	s_mov_b32 s0, 0
	s_mov_b32 s1, 0x7ff00000
	v_mov_b32_e32 v4, 0
	v_mov_b32_e32 v5, 0x7ff80000
	s_waitcnt vmcnt(0)
	v_cmp_neq_f64_e64 s[0:1], |v[2:3]|, s[0:1]
	s_and_saveexec_b64 s[2:3], s[0:1]
	s_cbranch_execz .LBB7_218
; %bb.172:
	s_mov_b32 s0, 0x872b020c
	s_mov_b32 s1, 0x4059f916
	v_cmp_nlt_f64_e32 vcc, s[0:1], v[2:3]
	v_pk_mov_b32 v[4:5], 0, 0
	s_and_saveexec_b64 s[8:9], vcc
	s_cbranch_execz .LBB7_217
; %bb.173:
	s_mov_b32 s1, 0xc000b851
	s_mov_b32 s0, 0xeb851eb8
	v_cmp_ngt_f64_e32 vcc, s[0:1], v[2:3]
                                        ; implicit-def: $vgpr4_vgpr5
	s_and_saveexec_b64 s[10:11], vcc
	s_xor_b64 s[10:11], exec, s[10:11]
	s_cbranch_execz .LBB7_181
; %bb.174:
	s_mov_b32 s1, 0x4000b851
	v_cmp_nle_f64_e64 s[12:13], s[0:1], v[2:3]
	v_cmp_le_f64_e32 vcc, s[0:1], v[2:3]
	v_pk_mov_b32 v[4:5], 0, 0
	s_mov_b64 s[0:1], s[12:13]
	s_and_saveexec_b64 s[14:15], vcc
	s_cbranch_execz .LBB7_176
; %bb.175:
	s_mov_b32 s0, 0
	s_brev_b32 s1, 8
	v_cmp_gt_f64_e32 vcc, s[0:1], v[2:3]
	v_cndmask_b32_e64 v1, 0, 1, vcc
	v_lshlrev_b32_e32 v1, 8, v1
	v_ldexp_f64 v[4:5], v[2:3], v1
	v_rsq_f64_e32 v[6:7], v[4:5]
	v_mov_b32_e32 v1, 0xffffff80
	v_mov_b32_e32 v20, 0x260
	v_add_f64 v[8:9], v[2:3], v[2:3]
	v_mul_f64 v[10:11], v[4:5], v[6:7]
	v_mul_f64 v[6:7], v[6:7], 0.5
	v_fma_f64 v[12:13], -v[6:7], v[10:11], 0.5
	v_fmac_f64_e32 v[10:11], v[10:11], v[12:13]
	v_fma_f64 v[14:15], -v[10:11], v[10:11], v[4:5]
	v_fmac_f64_e32 v[6:7], v[6:7], v[12:13]
	v_fmac_f64_e32 v[10:11], v[14:15], v[6:7]
	v_fma_f64 v[12:13], -v[10:11], v[10:11], v[4:5]
	v_fmac_f64_e32 v[10:11], v[12:13], v[6:7]
	v_cndmask_b32_e32 v6, 0, v1, vcc
	v_ldexp_f64 v[6:7], v[10:11], v6
	v_cmp_class_f64_e32 vcc, v[4:5], v20
	v_cndmask_b32_e32 v7, v7, v5, vcc
	v_cndmask_b32_e32 v6, v6, v4, vcc
	s_mov_b32 s16, 0
	v_mul_f64 v[4:5], v[8:9], v[6:7]
	s_mov_b32 s17, 0x40080000
	v_div_scale_f64 v[8:9], s[18:19], s[16:17], s[16:17], v[4:5]
	v_rcp_f64_e32 v[10:11], v[8:9]
	v_fma_f64 v[12:13], -v[8:9], v[10:11], 1.0
	v_fmac_f64_e32 v[10:11], v[10:11], v[12:13]
	v_fma_f64 v[12:13], -v[8:9], v[10:11], 1.0
	v_fmac_f64_e32 v[10:11], v[10:11], v[12:13]
	v_div_scale_f64 v[12:13], vcc, v[4:5], s[16:17], v[4:5]
	v_mul_f64 v[14:15], v[12:13], v[10:11]
	v_fma_f64 v[8:9], -v[8:9], v[14:15], v[12:13]
	s_nop 1
	v_div_fmas_f64 v[8:9], v[8:9], v[10:11], v[14:15]
	v_div_fixup_f64 v[4:5], v[8:9], s[16:17], v[4:5]
	v_div_scale_f64 v[8:9], s[16:17], v[4:5], v[4:5], 1.0
	v_rcp_f64_e32 v[10:11], v[8:9]
	v_fma_f64 v[12:13], -v[8:9], v[10:11], 1.0
	v_fmac_f64_e32 v[10:11], v[10:11], v[12:13]
	v_fma_f64 v[12:13], -v[8:9], v[10:11], 1.0
	v_fmac_f64_e32 v[10:11], v[10:11], v[12:13]
	v_div_scale_f64 v[12:13], vcc, 1.0, v[4:5], 1.0
	v_mul_f64 v[14:15], v[12:13], v[10:11]
	v_fma_f64 v[8:9], -v[8:9], v[14:15], v[12:13]
	v_mov_b32_e32 v12, 0x871a9067
	s_nop 0
	v_div_fmas_f64 v[8:9], v[8:9], v[10:11], v[14:15]
	v_div_fixup_f64 v[8:9], v[8:9], v[4:5], 1.0
	v_mov_b32_e32 v10, 0x2537b658
	v_mov_b32_e32 v11, 0x3fd62dae
	v_fmac_f64_e32 v[10:11], 0, v[8:9]
	v_mov_b32_e32 v13, 0x402803e3
	v_fmac_f64_e32 v[12:13], v[8:9], v[10:11]
	v_mov_b32_e32 v10, 0xde2e1e3
	v_mov_b32_e32 v11, 0x405311e5
	v_fmac_f64_e32 v[10:11], v[8:9], v[12:13]
	v_mov_b32_e32 v12, 0xee40073c
	;; [unrolled: 3-line block ×12, first 2 shown]
	v_mov_b32_e32 v13, 0x402c311b
	v_fmac_f64_e32 v[12:13], v[8:9], v[14:15]
	v_fma_f64 v[12:13], v[8:9], v[12:13], 1.0
	v_fma_f64 v[8:9], v[8:9], v[10:11], 1.0
	v_div_scale_f64 v[10:11], s[16:17], v[12:13], v[12:13], v[8:9]
	v_rcp_f64_e32 v[14:15], v[10:11]
	v_fma_f64 v[16:17], -v[10:11], v[14:15], 1.0
	v_fmac_f64_e32 v[14:15], v[14:15], v[16:17]
	v_fma_f64 v[16:17], -v[10:11], v[14:15], 1.0
	v_fmac_f64_e32 v[14:15], v[14:15], v[16:17]
	v_div_scale_f64 v[16:17], vcc, v[8:9], v[12:13], v[8:9]
	v_mul_f64 v[18:19], v[16:17], v[14:15]
	v_fma_f64 v[10:11], -v[10:11], v[18:19], v[16:17]
	s_nop 1
	v_div_fmas_f64 v[10:11], v[10:11], v[14:15], v[18:19]
	v_cmp_gt_f64_e32 vcc, s[0:1], v[6:7]
	v_div_fixup_f64 v[8:9], v[10:11], v[12:13], v[8:9]
	v_cndmask_b32_e64 v10, 0, 1, vcc
	v_lshlrev_b32_e32 v10, 8, v10
	v_ldexp_f64 v[10:11], v[6:7], v10
	v_rsq_f64_e32 v[12:13], v[10:11]
	s_mov_b32 s0, 0x50429b6d
	s_mov_b32 s1, 0x3fe20dd7
	v_mul_f64 v[6:7], v[8:9], s[0:1]
	v_mul_f64 v[8:9], v[10:11], v[12:13]
	v_mul_f64 v[12:13], v[12:13], 0.5
	v_fma_f64 v[14:15], -v[12:13], v[8:9], 0.5
	v_fmac_f64_e32 v[8:9], v[8:9], v[14:15]
	v_fma_f64 v[16:17], -v[8:9], v[8:9], v[10:11]
	v_fmac_f64_e32 v[12:13], v[12:13], v[14:15]
	v_fmac_f64_e32 v[8:9], v[16:17], v[12:13]
	v_fma_f64 v[14:15], -v[8:9], v[8:9], v[10:11]
	v_fmac_f64_e32 v[8:9], v[14:15], v[12:13]
	v_cndmask_b32_e32 v1, 0, v1, vcc
	s_mov_b32 s0, 0x652b82fe
	v_ldexp_f64 v[8:9], v[8:9], v1
	v_cmp_class_f64_e32 vcc, v[10:11], v20
	s_mov_b32 s1, 0x3ff71547
	v_cndmask_b32_e32 v9, v9, v11, vcc
	v_cndmask_b32_e32 v8, v8, v10, vcc
	v_mul_f64 v[10:11], v[4:5], s[0:1]
	s_mov_b32 s0, 0xfefa39ef
	v_rndne_f64_e32 v[10:11], v[10:11]
	s_mov_b32 s1, 0xbfe62e42
	v_fma_f64 v[12:13], s[0:1], v[10:11], v[4:5]
	s_mov_b32 s0, 0x3b39803f
	s_mov_b32 s1, 0xbc7abc9e
	v_fmac_f64_e32 v[12:13], s[0:1], v[10:11]
	s_mov_b32 s0, 0x6a5dcb37
	v_mov_b32_e32 v14, 0xfca7ab0c
	v_mov_b32_e32 v15, 0x3e928af3
	s_mov_b32 s1, 0x3e5ade15
	v_fmac_f64_e32 v[14:15], s[0:1], v[12:13]
	v_mov_b32_e32 v16, 0x623fde64
	v_mov_b32_e32 v17, 0x3ec71dee
	v_fmac_f64_e32 v[16:17], v[12:13], v[14:15]
	v_mov_b32_e32 v14, 0x7c89e6b0
	v_mov_b32_e32 v15, 0x3efa0199
	;; [unrolled: 3-line block ×8, first 2 shown]
	s_mov_b32 s0, 0
	v_fmac_f64_e32 v[14:15], v[12:13], v[16:17]
	s_mov_b32 s1, 0x40900000
	v_fma_f64 v[14:15], v[12:13], v[14:15], 1.0
	v_cmp_nlt_f64_e32 vcc, s[0:1], v[4:5]
	s_mov_b32 s0, 0
	v_fma_f64 v[12:13], v[12:13], v[14:15], 1.0
	v_cvt_i32_f64_e32 v1, v[10:11]
	s_mov_b32 s1, 0xc090cc00
	v_ldexp_f64 v[10:11], v[12:13], v1
	v_mov_b32_e32 v1, 0x7ff00000
	v_cmp_ngt_f64_e64 s[0:1], s[0:1], v[4:5]
	v_cndmask_b32_e32 v1, v1, v11, vcc
	s_and_b64 vcc, s[0:1], vcc
	v_add_f64 v[8:9], v[8:9], v[8:9]
	v_cndmask_b32_e64 v5, 0, v1, s[0:1]
	v_cndmask_b32_e32 v4, 0, v10, vcc
	v_mul_f64 v[4:5], v[8:9], v[4:5]
	v_div_scale_f64 v[8:9], s[0:1], v[4:5], v[4:5], v[6:7]
	v_rcp_f64_e32 v[10:11], v[8:9]
	s_mov_b32 s0, 0xfd0a823a
	s_mov_b32 s1, 0x4020a402
	v_fma_f64 v[12:13], -v[8:9], v[10:11], 1.0
	v_fmac_f64_e32 v[10:11], v[10:11], v[12:13]
	v_fma_f64 v[12:13], -v[8:9], v[10:11], 1.0
	v_fmac_f64_e32 v[10:11], v[10:11], v[12:13]
	v_div_scale_f64 v[12:13], vcc, v[6:7], v[4:5], v[6:7]
	v_mul_f64 v[14:15], v[12:13], v[10:11]
	v_fma_f64 v[8:9], -v[8:9], v[14:15], v[12:13]
	s_nop 1
	v_div_fmas_f64 v[8:9], v[8:9], v[10:11], v[14:15]
	v_cmp_nlt_f64_e32 vcc, s[0:1], v[2:3]
	s_andn2_b64 s[0:1], s[12:13], exec
	s_and_b64 s[16:17], vcc, exec
	v_div_fixup_f64 v[4:5], v[8:9], v[4:5], v[6:7]
	s_or_b64 s[0:1], s[0:1], s[16:17]
.LBB7_176:
	s_or_b64 exec, exec, s[14:15]
	s_and_saveexec_b64 s[14:15], s[0:1]
	s_cbranch_execz .LBB7_180
; %bb.177:
	v_mov_b32_e32 v14, 0
	v_mul_f64 v[6:7], v[2:3], v[2:3]
	v_mov_b32_e32 v15, 0x3ff00000
	s_mov_b32 s18, 0
	v_mul_f64 v[8:9], v[2:3], v[6:7]
	s_mov_b64 s[16:17], 0
	s_mov_b32 s19, 0x3cb00000
	v_pk_mov_b32 v[12:13], v[14:15], v[14:15] op_sel:[0,1]
	v_pk_mov_b32 v[10:11], v[2:3], v[2:3] op_sel:[0,1]
	;; [unrolled: 1-line block ×3, first 2 shown]
.LBB7_178:                              ; =>This Inner Loop Header: Depth=1
	v_mul_f64 v[14:15], v[8:9], v[14:15]
	v_add_f64 v[16:17], v[12:13], 1.0
	v_mul_f64 v[2:3], v[8:9], v[2:3]
	v_div_scale_f64 v[18:19], s[0:1], v[16:17], v[16:17], v[14:15]
	v_add_f64 v[22:23], v[16:17], 1.0
	v_rcp_f64_e32 v[26:27], v[18:19]
	v_div_scale_f64 v[28:29], s[0:1], v[22:23], v[22:23], v[2:3]
	v_rcp_f64_e32 v[32:33], v[28:29]
	v_fma_f64 v[34:35], -v[18:19], v[26:27], 1.0
	v_fmac_f64_e32 v[26:27], v[26:27], v[34:35]
	v_fma_f64 v[36:37], -v[18:19], v[26:27], 1.0
	v_fma_f64 v[34:35], -v[28:29], v[32:33], 1.0
	v_fmac_f64_e32 v[32:33], v[32:33], v[34:35]
	v_div_scale_f64 v[20:21], vcc, v[14:15], v[16:17], v[14:15]
	v_fmac_f64_e32 v[26:27], v[26:27], v[36:37]
	v_fma_f64 v[34:35], -v[28:29], v[32:33], 1.0
	v_div_scale_f64 v[30:31], s[0:1], v[2:3], v[22:23], v[2:3]
	v_mul_f64 v[36:37], v[20:21], v[26:27]
	v_fmac_f64_e32 v[32:33], v[32:33], v[34:35]
	v_fma_f64 v[18:19], -v[18:19], v[36:37], v[20:21]
	v_mul_f64 v[20:21], v[30:31], v[32:33]
	v_div_fmas_f64 v[18:19], v[18:19], v[26:27], v[36:37]
	v_fma_f64 v[26:27], -v[28:29], v[20:21], v[30:31]
	s_mov_b64 vcc, s[0:1]
	v_div_fixup_f64 v[14:15], v[18:19], v[16:17], v[14:15]
	v_div_fmas_f64 v[16:17], v[26:27], v[32:33], v[20:21]
	v_div_fixup_f64 v[2:3], v[16:17], v[22:23], v[2:3]
	v_div_scale_f64 v[16:17], s[0:1], v[22:23], v[22:23], v[14:15]
	v_add_f64 v[12:13], v[22:23], 1.0
	v_rcp_f64_e32 v[20:21], v[16:17]
	v_div_scale_f64 v[26:27], s[0:1], v[12:13], v[12:13], v[2:3]
	v_rcp_f64_e32 v[30:31], v[26:27]
	v_fma_f64 v[32:33], -v[16:17], v[20:21], 1.0
	v_fmac_f64_e32 v[20:21], v[20:21], v[32:33]
	v_fma_f64 v[34:35], -v[16:17], v[20:21], 1.0
	v_fma_f64 v[32:33], -v[26:27], v[30:31], 1.0
	v_div_scale_f64 v[18:19], vcc, v[14:15], v[22:23], v[14:15]
	v_fmac_f64_e32 v[30:31], v[30:31], v[32:33]
	v_fmac_f64_e32 v[20:21], v[20:21], v[34:35]
	v_fma_f64 v[32:33], -v[26:27], v[30:31], 1.0
	v_mul_f64 v[34:35], v[18:19], v[20:21]
	v_div_scale_f64 v[28:29], s[0:1], v[2:3], v[12:13], v[2:3]
	v_fmac_f64_e32 v[30:31], v[30:31], v[32:33]
	v_fma_f64 v[16:17], -v[16:17], v[34:35], v[18:19]
	v_mul_f64 v[18:19], v[28:29], v[30:31]
	v_div_fmas_f64 v[16:17], v[16:17], v[20:21], v[34:35]
	v_fma_f64 v[20:21], -v[26:27], v[18:19], v[28:29]
	v_div_fixup_f64 v[14:15], v[16:17], v[22:23], v[14:15]
	s_mov_b64 vcc, s[0:1]
	v_div_fmas_f64 v[16:17], v[20:21], v[30:31], v[18:19]
	v_add_f64 v[6:7], v[6:7], v[14:15]
	v_div_fixup_f64 v[2:3], v[16:17], v[12:13], v[2:3]
	v_div_scale_f64 v[16:17], s[0:1], v[6:7], v[6:7], v[14:15]
	v_rcp_f64_e32 v[18:19], v[16:17]
	v_div_scale_f64 v[20:21], vcc, v[14:15], v[6:7], v[14:15]
	v_add_f64 v[10:11], v[10:11], v[2:3]
	v_fma_f64 v[22:23], -v[16:17], v[18:19], 1.0
	v_fmac_f64_e32 v[18:19], v[18:19], v[22:23]
	v_fma_f64 v[22:23], -v[16:17], v[18:19], 1.0
	v_fmac_f64_e32 v[18:19], v[18:19], v[22:23]
	v_mul_f64 v[22:23], v[20:21], v[18:19]
	v_fma_f64 v[16:17], -v[16:17], v[22:23], v[20:21]
	v_div_fmas_f64 v[16:17], v[16:17], v[18:19], v[22:23]
	v_div_fixup_f64 v[16:17], v[16:17], v[6:7], v[14:15]
	v_cmp_ngt_f64_e64 s[0:1], |v[16:17]|, s[18:19]
	s_or_b64 s[16:17], s[0:1], s[16:17]
	s_andn2_b64 exec, exec, s[16:17]
	s_cbranch_execnz .LBB7_178
; %bb.179:
	s_or_b64 exec, exec, s[16:17]
	s_mov_b32 s0, 0x42b70f8b
	s_mov_b32 s1, 0xbfd0907f
	v_mul_f64 v[2:3], v[10:11], s[0:1]
	s_mov_b32 s0, 0x962715b8
	s_mov_b32 s1, 0x3fd6b8c7
	v_fmac_f64_e32 v[2:3], s[0:1], v[6:7]
	v_cndmask_b32_e64 v5, v5, v3, s[12:13]
	v_cndmask_b32_e64 v4, v4, v2, s[12:13]
.LBB7_180:
	s_or_b64 exec, exec, s[14:15]
                                        ; implicit-def: $vgpr2_vgpr3
.LBB7_181:
	s_andn2_saveexec_b64 s[10:11], s[10:11]
	s_cbranch_execz .LBB7_216
; %bb.182:
	s_mov_b32 s0, 0
	s_brev_b32 s1, 9
	v_cmp_lt_f64_e32 vcc, s[0:1], v[2:3]
	v_cndmask_b32_e64 v1, 0, 1, vcc
	v_lshlrev_b32_e32 v1, 8, v1
	v_ldexp_f64 v[4:5], -v[2:3], v1
	v_rsq_f64_e32 v[6:7], v[4:5]
	v_mul_f64 v[8:9], v[2:3], -2.0
	v_mov_b32_e32 v1, 0xffffff80
	v_cndmask_b32_e32 v1, 0, v1, vcc
	v_mul_f64 v[2:3], v[4:5], v[6:7]
	v_mul_f64 v[6:7], v[6:7], 0.5
	v_fma_f64 v[10:11], -v[6:7], v[2:3], 0.5
	v_fmac_f64_e32 v[2:3], v[2:3], v[10:11]
	v_fma_f64 v[12:13], -v[2:3], v[2:3], v[4:5]
	v_fmac_f64_e32 v[6:7], v[6:7], v[10:11]
	v_fmac_f64_e32 v[2:3], v[12:13], v[6:7]
	v_fma_f64 v[10:11], -v[2:3], v[2:3], v[4:5]
	v_fmac_f64_e32 v[2:3], v[10:11], v[6:7]
	v_ldexp_f64 v[2:3], v[2:3], v1
	v_mov_b32_e32 v1, 0x260
	v_cmp_class_f64_e32 vcc, v[4:5], v1
	v_cndmask_b32_e32 v3, v3, v5, vcc
	v_cndmask_b32_e32 v2, v2, v4, vcc
	s_mov_b32 s12, 0
	v_mul_f64 v[4:5], v[8:9], v[2:3]
	s_mov_b32 s13, 0x40080000
	v_div_scale_f64 v[6:7], s[0:1], s[12:13], s[12:13], v[4:5]
	v_rcp_f64_e32 v[8:9], v[6:7]
	s_mov_b32 s15, 0x3fe921fb
	s_mov_b32 s14, 0x54442d18
	s_movk_i32 s0, 0xff80
	v_fma_f64 v[10:11], -v[6:7], v[8:9], 1.0
	v_fmac_f64_e32 v[8:9], v[8:9], v[10:11]
	v_fma_f64 v[10:11], -v[6:7], v[8:9], 1.0
	v_fmac_f64_e32 v[8:9], v[8:9], v[10:11]
	v_div_scale_f64 v[10:11], vcc, v[4:5], s[12:13], v[4:5]
	v_mul_f64 v[12:13], v[10:11], v[8:9]
	v_fma_f64 v[6:7], -v[6:7], v[12:13], v[10:11]
                                        ; implicit-def: $vgpr25
                                        ; implicit-def: $vgpr14_vgpr15
	s_nop 1
	v_div_fmas_f64 v[6:7], v[6:7], v[8:9], v[12:13]
	v_div_fixup_f64 v[10:11], v[6:7], s[12:13], v[4:5]
	s_mov_b32 s12, 0
	v_add_f64 v[4:5], v[10:11], s[14:15]
	s_mov_b32 s13, 0x41d00000
	v_cmp_nlt_f64_e64 s[12:13], |v[4:5]|, s[12:13]
                                        ; implicit-def: $vgpr12_vgpr13
	s_and_saveexec_b64 s[16:17], s[12:13]
	s_xor_b64 s[16:17], exec, s[16:17]
	s_cbranch_execz .LBB7_205
; %bb.183:
	s_mov_b32 s18, 0
	s_mov_b32 s19, 0x7b000000
	v_and_b32_e32 v1, 0x7fffffff, v5
	v_ldexp_f64 v[12:13], |v[4:5]|, s0
	v_cmp_ge_f64_e64 vcc, |v[4:5]|, s[18:19]
	v_trig_preop_f64 v[6:7], |v[4:5]|, 0
	v_cndmask_b32_e32 v13, v1, v13, vcc
	v_cndmask_b32_e32 v12, v4, v12, vcc
	v_trig_preop_f64 v[8:9], |v[4:5]|, 1
	v_mul_f64 v[16:17], v[6:7], v[12:13]
	v_mul_f64 v[14:15], v[8:9], v[12:13]
	v_fma_f64 v[6:7], v[6:7], v[12:13], -v[16:17]
	v_add_f64 v[18:19], v[14:15], v[6:7]
	v_add_f64 v[20:21], v[16:17], v[18:19]
	s_mov_b32 s0, 0
	v_ldexp_f64 v[22:23], v[20:21], -2
	s_mov_b32 s1, 0x7ff00000
	v_fract_f64_e32 v[26:27], v[22:23]
	v_cmp_neq_f64_e64 vcc, |v[22:23]|, s[0:1]
	v_cndmask_b32_e32 v23, 0, v27, vcc
	v_cndmask_b32_e32 v22, 0, v26, vcc
	v_add_f64 v[26:27], v[18:19], -v[14:15]
	v_add_f64 v[6:7], v[6:7], -v[26:27]
	;; [unrolled: 1-line block ×4, first 2 shown]
	v_fma_f64 v[8:9], v[8:9], v[12:13], -v[14:15]
	v_trig_preop_f64 v[14:15], |v[4:5]|, 2
	v_add_f64 v[6:7], v[6:7], v[26:27]
	v_mul_f64 v[26:27], v[14:15], v[12:13]
	v_add_f64 v[30:31], v[26:27], v[8:9]
	v_add_f64 v[32:33], v[30:31], v[6:7]
	v_add_f64 v[16:17], v[20:21], -v[16:17]
	v_add_f64 v[20:21], v[32:33], -v[30:31]
	;; [unrolled: 1-line block ×5, first 2 shown]
	v_add_f64 v[6:7], v[6:7], v[20:21]
	v_add_f64 v[20:21], v[30:31], -v[26:27]
	v_add_f64 v[8:9], v[8:9], -v[20:21]
	;; [unrolled: 1-line block ×4, first 2 shown]
	v_add_f64 v[8:9], v[8:9], v[20:21]
	v_add_f64 v[16:17], v[18:19], -v[16:17]
	v_add_f64 v[6:7], v[8:9], v[6:7]
	v_fma_f64 v[8:9], v[14:15], v[12:13], -v[26:27]
	v_add_f64 v[18:19], v[16:17], v[32:33]
	v_add_f64 v[6:7], v[8:9], v[6:7]
	v_ldexp_f64 v[8:9], v[22:23], 2
	v_add_f64 v[12:13], v[18:19], v[8:9]
	v_mov_b32_e32 v1, 0x40100000
	v_cmp_gt_f64_e32 vcc, 0, v[12:13]
	v_mov_b32_e32 v28, 0
	v_cndmask_b32_e32 v29, 0, v1, vcc
	v_add_f64 v[8:9], v[8:9], v[28:29]
	v_add_f64 v[12:13], v[18:19], v[8:9]
	v_cvt_i32_f64_e32 v1, v[12:13]
	v_cvt_f64_i32_e32 v[12:13], v1
	v_add_f64 v[8:9], v[8:9], -v[12:13]
	v_add_f64 v[12:13], v[18:19], v[8:9]
	v_add_f64 v[16:17], v[18:19], -v[16:17]
	v_cmp_le_f64_e32 vcc, 0.5, v[12:13]
	v_add_f64 v[16:17], v[32:33], -v[16:17]
	v_add_f64 v[8:9], v[12:13], -v[8:9]
	v_addc_co_u32_e64 v25, s[0:1], 0, v1, vcc
	v_mov_b32_e32 v1, 0x3ff00000
	v_add_f64 v[6:7], v[16:17], v[6:7]
	v_add_f64 v[8:9], v[18:19], -v[8:9]
	v_cndmask_b32_e32 v29, 0, v1, vcc
	v_add_f64 v[6:7], v[6:7], v[8:9]
	v_add_f64 v[8:9], v[12:13], -v[28:29]
	v_add_f64 v[12:13], v[8:9], v[6:7]
	v_add_f64 v[8:9], v[12:13], -v[8:9]
	s_mov_b32 s15, 0x3ff921fb
	v_add_f64 v[6:7], v[6:7], -v[8:9]
	v_mul_f64 v[8:9], v[12:13], s[14:15]
	s_mov_b32 s0, 0x33145c07
	v_fma_f64 v[14:15], v[12:13], s[14:15], -v[8:9]
	s_mov_b32 s1, 0x3c91a626
	v_fmac_f64_e32 v[14:15], s[0:1], v[12:13]
	v_fmac_f64_e32 v[14:15], s[14:15], v[6:7]
	v_add_f64 v[12:13], v[8:9], v[14:15]
	v_add_f64 v[6:7], v[12:13], -v[8:9]
	v_add_f64 v[14:15], v[14:15], -v[6:7]
	s_andn2_saveexec_b64 s[0:1], s[16:17]
	s_cbranch_execz .LBB7_207
	s_branch .LBB7_206
.LBB7_184:
	s_mov_b32 s51, s50
	v_pk_mov_b32 v[0:1], s[50:51], s[50:51] op_sel:[0,1]
                                        ; implicit-def: $vgpr2
	v_mov_b32_e32 v3, v24
.LBB7_185:
	s_and_b32 s8, s56, 3
	s_cmp_eq_u32 s8, 0
	s_cbranch_scc1 .LBB7_189
; %bb.186:
	s_lshl_b32 s0, s50, 3
	s_add_u32 s0, s0, s4
	s_addc_u32 s1, s5, 0
	s_add_u32 s0, s0, 0xc4
	s_addc_u32 s1, s1, 0
	s_mul_i32 s2, s50, 12
	s_add_u32 s2, s4, s2
	s_addc_u32 s3, s5, 0
.LBB7_187:                              ; =>This Inner Loop Header: Depth=1
	s_load_dwordx2 s[10:11], s[2:3], 0x4
	s_load_dword s9, s[2:3], 0xc
	s_load_dwordx2 s[12:13], s[0:1], 0x0
	v_mov_b32_e32 v2, v1
	s_add_u32 s2, s2, 12
	s_waitcnt lgkmcnt(0)
	v_mul_hi_u32 v1, s11, v3
	v_add_u32_e32 v1, v3, v1
	v_lshrrev_b32_e32 v1, s9, v1
	s_addc_u32 s3, s3, 0
	v_mul_lo_u32 v4, v1, s10
	s_add_u32 s0, s0, 8
	v_sub_u32_e32 v6, v3, v4
	v_mov_b32_e32 v3, v1
	s_addc_u32 s1, s1, 0
	s_add_i32 s8, s8, -1
	v_mad_u64_u32 v[4:5], s[10:11], v6, s13, v[2:3]
	v_mad_u64_u32 v[0:1], s[10:11], v6, s12, v[0:1]
	s_cmp_lg_u32 s8, 0
	v_mov_b32_e32 v1, v4
	s_cbranch_scc1 .LBB7_187
; %bb.188:
	v_mov_b32_e32 v2, v1
.LBB7_189:
	s_cbranch_execnz .LBB7_192
.LBB7_190:
	s_waitcnt lgkmcnt(0)
	v_mul_hi_u32 v0, s37, v24
	v_add_u32_e32 v0, v24, v0
	v_lshrrev_b32_e32 v1, s38, v0
	v_mul_lo_u32 v0, v1, s36
	v_sub_u32_e32 v0, v24, v0
	v_mul_lo_u32 v2, v0, s29
	s_andn2_b64 vcc, exec, s[42:43]
	v_mul_lo_u32 v0, v0, s28
	s_cbranch_vccnz .LBB7_192
; %bb.191:
	v_mul_hi_u32 v3, s40, v1
	v_add_u32_e32 v3, v1, v3
	v_lshrrev_b32_e32 v3, s41, v3
	v_mul_lo_u32 v3, v3, s39
	v_sub_u32_e32 v3, v1, v3
	v_mad_u64_u32 v[0:1], s[0:1], v3, s30, v[0:1]
	v_mad_u64_u32 v[2:3], s[0:1], v3, s31, v[2:3]
.LBB7_192:
	s_waitcnt lgkmcnt(0)
	global_load_dwordx2 v[2:3], v2, s[26:27]
	s_mov_b32 s0, 0
	s_mov_b32 s1, 0x7ff00000
	v_mov_b32_e32 v4, 0
	v_mov_b32_e32 v5, 0x7ff80000
	s_waitcnt vmcnt(0)
	v_cmp_neq_f64_e64 s[0:1], |v[2:3]|, s[0:1]
	s_and_saveexec_b64 s[2:3], s[0:1]
	s_cbranch_execz .LBB7_253
; %bb.193:
	s_mov_b32 s0, 0x872b020c
	s_mov_b32 s1, 0x4059f916
	v_cmp_nlt_f64_e32 vcc, s[0:1], v[2:3]
	v_pk_mov_b32 v[4:5], 0, 0
	s_and_saveexec_b64 s[8:9], vcc
	s_cbranch_execz .LBB7_252
; %bb.194:
	s_mov_b32 s1, 0xc000b851
	s_mov_b32 s0, 0xeb851eb8
	v_cmp_ngt_f64_e32 vcc, s[0:1], v[2:3]
                                        ; implicit-def: $vgpr4_vgpr5
	s_and_saveexec_b64 s[10:11], vcc
	s_xor_b64 s[10:11], exec, s[10:11]
	s_cbranch_execz .LBB7_202
; %bb.195:
	s_mov_b32 s1, 0x4000b851
	v_cmp_nle_f64_e64 s[12:13], s[0:1], v[2:3]
	v_cmp_le_f64_e32 vcc, s[0:1], v[2:3]
	v_pk_mov_b32 v[4:5], 0, 0
	s_mov_b64 s[0:1], s[12:13]
	s_and_saveexec_b64 s[14:15], vcc
	s_cbranch_execz .LBB7_197
; %bb.196:
	s_mov_b32 s0, 0
	s_brev_b32 s1, 8
	v_cmp_gt_f64_e32 vcc, s[0:1], v[2:3]
	v_cndmask_b32_e64 v1, 0, 1, vcc
	v_lshlrev_b32_e32 v1, 8, v1
	v_ldexp_f64 v[4:5], v[2:3], v1
	v_rsq_f64_e32 v[6:7], v[4:5]
	v_mov_b32_e32 v1, 0xffffff80
	v_mov_b32_e32 v20, 0x260
	v_add_f64 v[8:9], v[2:3], v[2:3]
	v_mul_f64 v[10:11], v[4:5], v[6:7]
	v_mul_f64 v[6:7], v[6:7], 0.5
	v_fma_f64 v[12:13], -v[6:7], v[10:11], 0.5
	v_fmac_f64_e32 v[10:11], v[10:11], v[12:13]
	v_fma_f64 v[14:15], -v[10:11], v[10:11], v[4:5]
	v_fmac_f64_e32 v[6:7], v[6:7], v[12:13]
	v_fmac_f64_e32 v[10:11], v[14:15], v[6:7]
	v_fma_f64 v[12:13], -v[10:11], v[10:11], v[4:5]
	v_fmac_f64_e32 v[10:11], v[12:13], v[6:7]
	v_cndmask_b32_e32 v6, 0, v1, vcc
	v_ldexp_f64 v[6:7], v[10:11], v6
	v_cmp_class_f64_e32 vcc, v[4:5], v20
	v_cndmask_b32_e32 v7, v7, v5, vcc
	v_cndmask_b32_e32 v6, v6, v4, vcc
	s_mov_b32 s16, 0
	v_mul_f64 v[4:5], v[8:9], v[6:7]
	s_mov_b32 s17, 0x40080000
	v_div_scale_f64 v[8:9], s[18:19], s[16:17], s[16:17], v[4:5]
	v_rcp_f64_e32 v[10:11], v[8:9]
	v_fma_f64 v[12:13], -v[8:9], v[10:11], 1.0
	v_fmac_f64_e32 v[10:11], v[10:11], v[12:13]
	v_fma_f64 v[12:13], -v[8:9], v[10:11], 1.0
	v_fmac_f64_e32 v[10:11], v[10:11], v[12:13]
	v_div_scale_f64 v[12:13], vcc, v[4:5], s[16:17], v[4:5]
	v_mul_f64 v[14:15], v[12:13], v[10:11]
	v_fma_f64 v[8:9], -v[8:9], v[14:15], v[12:13]
	s_nop 1
	v_div_fmas_f64 v[8:9], v[8:9], v[10:11], v[14:15]
	v_div_fixup_f64 v[4:5], v[8:9], s[16:17], v[4:5]
	v_div_scale_f64 v[8:9], s[16:17], v[4:5], v[4:5], 1.0
	v_rcp_f64_e32 v[10:11], v[8:9]
	v_fma_f64 v[12:13], -v[8:9], v[10:11], 1.0
	v_fmac_f64_e32 v[10:11], v[10:11], v[12:13]
	v_fma_f64 v[12:13], -v[8:9], v[10:11], 1.0
	v_fmac_f64_e32 v[10:11], v[10:11], v[12:13]
	v_div_scale_f64 v[12:13], vcc, 1.0, v[4:5], 1.0
	v_mul_f64 v[14:15], v[12:13], v[10:11]
	v_fma_f64 v[8:9], -v[8:9], v[14:15], v[12:13]
	v_mov_b32_e32 v12, 0x871a9067
	s_nop 0
	v_div_fmas_f64 v[8:9], v[8:9], v[10:11], v[14:15]
	v_div_fixup_f64 v[8:9], v[8:9], v[4:5], 1.0
	v_mov_b32_e32 v10, 0x2537b658
	v_mov_b32_e32 v11, 0x3fd62dae
	v_fmac_f64_e32 v[10:11], 0, v[8:9]
	v_mov_b32_e32 v13, 0x402803e3
	v_fmac_f64_e32 v[12:13], v[8:9], v[10:11]
	v_mov_b32_e32 v10, 0xde2e1e3
	v_mov_b32_e32 v11, 0x405311e5
	v_fmac_f64_e32 v[10:11], v[8:9], v[12:13]
	v_mov_b32_e32 v12, 0xee40073c
	v_mov_b32_e32 v13, 0x406502da
	v_fmac_f64_e32 v[12:13], v[8:9], v[10:11]
	v_mov_b32_e32 v10, 0x5ba1fddf
	v_mov_b32_e32 v11, 0x4063f834
	v_fmac_f64_e32 v[10:11], v[8:9], v[12:13]
	v_mov_b32_e32 v12, 0x4f4cea4f
	v_mov_b32_e32 v13, 0x4051a24f
	v_fmac_f64_e32 v[12:13], v[8:9], v[10:11]
	v_mov_b32_e32 v10, 0x5c2a0f4d
	v_mov_b32_e32 v11, 0x402c0d8d
	v_fmac_f64_e32 v[10:11], v[8:9], v[12:13]
	v_mov_b32_e32 v12, 0x2624d31
	v_mov_b32_e32 v13, 0x3fe229bc
	v_fmac_f64_e32 v[12:13], 0, v[8:9]
	v_mov_b32_e32 v14, 0x5332ca5
	v_mov_b32_e32 v15, 0x402d8334
	v_fmac_f64_e32 v[14:15], v[8:9], v[12:13]
	v_mov_b32_e32 v12, 0xb04d51a0
	v_mov_b32_e32 v13, 0x405520e3
	v_fmac_f64_e32 v[12:13], v[8:9], v[14:15]
	v_mov_b32_e32 v14, 0xc730b7b0
	v_mov_b32_e32 v15, 0x40662a2d
	v_fmac_f64_e32 v[14:15], v[8:9], v[12:13]
	v_mov_b32_e32 v12, 0x9a9ffa61
	v_mov_b32_e32 v13, 0x40648782
	v_fmac_f64_e32 v[12:13], v[8:9], v[14:15]
	v_mov_b32_e32 v14, 0xee91d35f
	v_mov_b32_e32 v15, 0x4051de94
	v_fmac_f64_e32 v[14:15], v[8:9], v[12:13]
	v_mov_b32_e32 v12, 0x950d9d81
	v_mov_b32_e32 v13, 0x402c311b
	v_fmac_f64_e32 v[12:13], v[8:9], v[14:15]
	v_fma_f64 v[12:13], v[8:9], v[12:13], 1.0
	v_fma_f64 v[8:9], v[8:9], v[10:11], 1.0
	v_div_scale_f64 v[10:11], s[16:17], v[12:13], v[12:13], v[8:9]
	v_rcp_f64_e32 v[14:15], v[10:11]
	v_fma_f64 v[16:17], -v[10:11], v[14:15], 1.0
	v_fmac_f64_e32 v[14:15], v[14:15], v[16:17]
	v_fma_f64 v[16:17], -v[10:11], v[14:15], 1.0
	v_fmac_f64_e32 v[14:15], v[14:15], v[16:17]
	v_div_scale_f64 v[16:17], vcc, v[8:9], v[12:13], v[8:9]
	v_mul_f64 v[18:19], v[16:17], v[14:15]
	v_fma_f64 v[10:11], -v[10:11], v[18:19], v[16:17]
	s_nop 1
	v_div_fmas_f64 v[10:11], v[10:11], v[14:15], v[18:19]
	v_cmp_gt_f64_e32 vcc, s[0:1], v[6:7]
	v_div_fixup_f64 v[8:9], v[10:11], v[12:13], v[8:9]
	v_cndmask_b32_e64 v10, 0, 1, vcc
	v_lshlrev_b32_e32 v10, 8, v10
	v_ldexp_f64 v[10:11], v[6:7], v10
	v_rsq_f64_e32 v[12:13], v[10:11]
	s_mov_b32 s0, 0x50429b6d
	s_mov_b32 s1, 0x3fe20dd7
	v_mul_f64 v[6:7], v[8:9], s[0:1]
	v_mul_f64 v[8:9], v[10:11], v[12:13]
	v_mul_f64 v[12:13], v[12:13], 0.5
	v_fma_f64 v[14:15], -v[12:13], v[8:9], 0.5
	v_fmac_f64_e32 v[8:9], v[8:9], v[14:15]
	v_fma_f64 v[16:17], -v[8:9], v[8:9], v[10:11]
	v_fmac_f64_e32 v[12:13], v[12:13], v[14:15]
	v_fmac_f64_e32 v[8:9], v[16:17], v[12:13]
	v_fma_f64 v[14:15], -v[8:9], v[8:9], v[10:11]
	v_fmac_f64_e32 v[8:9], v[14:15], v[12:13]
	v_cndmask_b32_e32 v1, 0, v1, vcc
	s_mov_b32 s0, 0x652b82fe
	v_ldexp_f64 v[8:9], v[8:9], v1
	v_cmp_class_f64_e32 vcc, v[10:11], v20
	s_mov_b32 s1, 0x3ff71547
	v_cndmask_b32_e32 v9, v9, v11, vcc
	v_cndmask_b32_e32 v8, v8, v10, vcc
	v_mul_f64 v[10:11], v[4:5], s[0:1]
	s_mov_b32 s0, 0xfefa39ef
	v_rndne_f64_e32 v[10:11], v[10:11]
	s_mov_b32 s1, 0xbfe62e42
	v_fma_f64 v[12:13], s[0:1], v[10:11], v[4:5]
	s_mov_b32 s0, 0x3b39803f
	s_mov_b32 s1, 0xbc7abc9e
	v_fmac_f64_e32 v[12:13], s[0:1], v[10:11]
	s_mov_b32 s0, 0x6a5dcb37
	v_mov_b32_e32 v14, 0xfca7ab0c
	v_mov_b32_e32 v15, 0x3e928af3
	s_mov_b32 s1, 0x3e5ade15
	v_fmac_f64_e32 v[14:15], s[0:1], v[12:13]
	v_mov_b32_e32 v16, 0x623fde64
	v_mov_b32_e32 v17, 0x3ec71dee
	v_fmac_f64_e32 v[16:17], v[12:13], v[14:15]
	v_mov_b32_e32 v14, 0x7c89e6b0
	v_mov_b32_e32 v15, 0x3efa0199
	;; [unrolled: 3-line block ×8, first 2 shown]
	s_mov_b32 s0, 0
	v_fmac_f64_e32 v[14:15], v[12:13], v[16:17]
	s_mov_b32 s1, 0x40900000
	v_fma_f64 v[14:15], v[12:13], v[14:15], 1.0
	v_cmp_nlt_f64_e32 vcc, s[0:1], v[4:5]
	s_mov_b32 s0, 0
	v_fma_f64 v[12:13], v[12:13], v[14:15], 1.0
	v_cvt_i32_f64_e32 v1, v[10:11]
	s_mov_b32 s1, 0xc090cc00
	v_ldexp_f64 v[10:11], v[12:13], v1
	v_mov_b32_e32 v1, 0x7ff00000
	v_cmp_ngt_f64_e64 s[0:1], s[0:1], v[4:5]
	v_cndmask_b32_e32 v1, v1, v11, vcc
	s_and_b64 vcc, s[0:1], vcc
	v_add_f64 v[8:9], v[8:9], v[8:9]
	v_cndmask_b32_e64 v5, 0, v1, s[0:1]
	v_cndmask_b32_e32 v4, 0, v10, vcc
	v_mul_f64 v[4:5], v[8:9], v[4:5]
	v_div_scale_f64 v[8:9], s[0:1], v[4:5], v[4:5], v[6:7]
	v_rcp_f64_e32 v[10:11], v[8:9]
	s_mov_b32 s0, 0xfd0a823a
	s_mov_b32 s1, 0x4020a402
	v_fma_f64 v[12:13], -v[8:9], v[10:11], 1.0
	v_fmac_f64_e32 v[10:11], v[10:11], v[12:13]
	v_fma_f64 v[12:13], -v[8:9], v[10:11], 1.0
	v_fmac_f64_e32 v[10:11], v[10:11], v[12:13]
	v_div_scale_f64 v[12:13], vcc, v[6:7], v[4:5], v[6:7]
	v_mul_f64 v[14:15], v[12:13], v[10:11]
	v_fma_f64 v[8:9], -v[8:9], v[14:15], v[12:13]
	s_nop 1
	v_div_fmas_f64 v[8:9], v[8:9], v[10:11], v[14:15]
	v_cmp_nlt_f64_e32 vcc, s[0:1], v[2:3]
	s_andn2_b64 s[0:1], s[12:13], exec
	s_and_b64 s[16:17], vcc, exec
	v_div_fixup_f64 v[4:5], v[8:9], v[4:5], v[6:7]
	s_or_b64 s[0:1], s[0:1], s[16:17]
.LBB7_197:
	s_or_b64 exec, exec, s[14:15]
	s_and_saveexec_b64 s[14:15], s[0:1]
	s_cbranch_execz .LBB7_201
; %bb.198:
	v_mov_b32_e32 v14, 0
	v_mul_f64 v[6:7], v[2:3], v[2:3]
	v_mov_b32_e32 v15, 0x3ff00000
	s_mov_b32 s18, 0
	v_mul_f64 v[8:9], v[2:3], v[6:7]
	s_mov_b64 s[16:17], 0
	s_mov_b32 s19, 0x3cb00000
	v_pk_mov_b32 v[12:13], v[14:15], v[14:15] op_sel:[0,1]
	v_pk_mov_b32 v[10:11], v[2:3], v[2:3] op_sel:[0,1]
	;; [unrolled: 1-line block ×3, first 2 shown]
.LBB7_199:                              ; =>This Inner Loop Header: Depth=1
	v_mul_f64 v[14:15], v[8:9], v[14:15]
	v_add_f64 v[16:17], v[12:13], 1.0
	v_mul_f64 v[2:3], v[8:9], v[2:3]
	v_div_scale_f64 v[18:19], s[0:1], v[16:17], v[16:17], v[14:15]
	v_add_f64 v[22:23], v[16:17], 1.0
	v_rcp_f64_e32 v[26:27], v[18:19]
	v_div_scale_f64 v[28:29], s[0:1], v[22:23], v[22:23], v[2:3]
	v_rcp_f64_e32 v[32:33], v[28:29]
	v_fma_f64 v[34:35], -v[18:19], v[26:27], 1.0
	v_fmac_f64_e32 v[26:27], v[26:27], v[34:35]
	v_fma_f64 v[36:37], -v[18:19], v[26:27], 1.0
	v_fma_f64 v[34:35], -v[28:29], v[32:33], 1.0
	v_fmac_f64_e32 v[32:33], v[32:33], v[34:35]
	v_div_scale_f64 v[20:21], vcc, v[14:15], v[16:17], v[14:15]
	v_fmac_f64_e32 v[26:27], v[26:27], v[36:37]
	v_fma_f64 v[34:35], -v[28:29], v[32:33], 1.0
	v_div_scale_f64 v[30:31], s[0:1], v[2:3], v[22:23], v[2:3]
	v_mul_f64 v[36:37], v[20:21], v[26:27]
	v_fmac_f64_e32 v[32:33], v[32:33], v[34:35]
	v_fma_f64 v[18:19], -v[18:19], v[36:37], v[20:21]
	v_mul_f64 v[20:21], v[30:31], v[32:33]
	v_div_fmas_f64 v[18:19], v[18:19], v[26:27], v[36:37]
	v_fma_f64 v[26:27], -v[28:29], v[20:21], v[30:31]
	s_mov_b64 vcc, s[0:1]
	v_div_fixup_f64 v[14:15], v[18:19], v[16:17], v[14:15]
	v_div_fmas_f64 v[16:17], v[26:27], v[32:33], v[20:21]
	v_div_fixup_f64 v[2:3], v[16:17], v[22:23], v[2:3]
	v_div_scale_f64 v[16:17], s[0:1], v[22:23], v[22:23], v[14:15]
	v_add_f64 v[12:13], v[22:23], 1.0
	v_rcp_f64_e32 v[20:21], v[16:17]
	v_div_scale_f64 v[26:27], s[0:1], v[12:13], v[12:13], v[2:3]
	v_rcp_f64_e32 v[30:31], v[26:27]
	v_fma_f64 v[32:33], -v[16:17], v[20:21], 1.0
	v_fmac_f64_e32 v[20:21], v[20:21], v[32:33]
	v_fma_f64 v[34:35], -v[16:17], v[20:21], 1.0
	v_fma_f64 v[32:33], -v[26:27], v[30:31], 1.0
	v_div_scale_f64 v[18:19], vcc, v[14:15], v[22:23], v[14:15]
	v_fmac_f64_e32 v[30:31], v[30:31], v[32:33]
	v_fmac_f64_e32 v[20:21], v[20:21], v[34:35]
	v_fma_f64 v[32:33], -v[26:27], v[30:31], 1.0
	v_mul_f64 v[34:35], v[18:19], v[20:21]
	v_div_scale_f64 v[28:29], s[0:1], v[2:3], v[12:13], v[2:3]
	v_fmac_f64_e32 v[30:31], v[30:31], v[32:33]
	v_fma_f64 v[16:17], -v[16:17], v[34:35], v[18:19]
	v_mul_f64 v[18:19], v[28:29], v[30:31]
	v_div_fmas_f64 v[16:17], v[16:17], v[20:21], v[34:35]
	v_fma_f64 v[20:21], -v[26:27], v[18:19], v[28:29]
	v_div_fixup_f64 v[14:15], v[16:17], v[22:23], v[14:15]
	s_mov_b64 vcc, s[0:1]
	v_div_fmas_f64 v[16:17], v[20:21], v[30:31], v[18:19]
	v_add_f64 v[6:7], v[6:7], v[14:15]
	v_div_fixup_f64 v[2:3], v[16:17], v[12:13], v[2:3]
	v_div_scale_f64 v[16:17], s[0:1], v[6:7], v[6:7], v[14:15]
	v_rcp_f64_e32 v[18:19], v[16:17]
	v_div_scale_f64 v[20:21], vcc, v[14:15], v[6:7], v[14:15]
	v_add_f64 v[10:11], v[10:11], v[2:3]
	v_fma_f64 v[22:23], -v[16:17], v[18:19], 1.0
	v_fmac_f64_e32 v[18:19], v[18:19], v[22:23]
	v_fma_f64 v[22:23], -v[16:17], v[18:19], 1.0
	v_fmac_f64_e32 v[18:19], v[18:19], v[22:23]
	v_mul_f64 v[22:23], v[20:21], v[18:19]
	v_fma_f64 v[16:17], -v[16:17], v[22:23], v[20:21]
	v_div_fmas_f64 v[16:17], v[16:17], v[18:19], v[22:23]
	v_div_fixup_f64 v[16:17], v[16:17], v[6:7], v[14:15]
	v_cmp_ngt_f64_e64 s[0:1], |v[16:17]|, s[18:19]
	s_or_b64 s[16:17], s[0:1], s[16:17]
	s_andn2_b64 exec, exec, s[16:17]
	s_cbranch_execnz .LBB7_199
; %bb.200:
	s_or_b64 exec, exec, s[16:17]
	s_mov_b32 s0, 0x42b70f8b
	s_mov_b32 s1, 0xbfd0907f
	v_mul_f64 v[2:3], v[10:11], s[0:1]
	s_mov_b32 s0, 0x962715b8
	s_mov_b32 s1, 0x3fd6b8c7
	v_fmac_f64_e32 v[2:3], s[0:1], v[6:7]
	v_cndmask_b32_e64 v5, v5, v3, s[12:13]
	v_cndmask_b32_e64 v4, v4, v2, s[12:13]
.LBB7_201:
	s_or_b64 exec, exec, s[14:15]
                                        ; implicit-def: $vgpr2_vgpr3
.LBB7_202:
	s_andn2_saveexec_b64 s[10:11], s[10:11]
	s_cbranch_execz .LBB7_251
; %bb.203:
	s_mov_b32 s0, 0
	s_brev_b32 s1, 9
	v_cmp_lt_f64_e32 vcc, s[0:1], v[2:3]
	v_cndmask_b32_e64 v1, 0, 1, vcc
	v_lshlrev_b32_e32 v1, 8, v1
	v_ldexp_f64 v[4:5], -v[2:3], v1
	v_rsq_f64_e32 v[6:7], v[4:5]
	v_mul_f64 v[8:9], v[2:3], -2.0
	v_mov_b32_e32 v1, 0xffffff80
	v_cndmask_b32_e32 v1, 0, v1, vcc
	v_mul_f64 v[2:3], v[4:5], v[6:7]
	v_mul_f64 v[6:7], v[6:7], 0.5
	v_fma_f64 v[10:11], -v[6:7], v[2:3], 0.5
	v_fmac_f64_e32 v[2:3], v[2:3], v[10:11]
	v_fma_f64 v[12:13], -v[2:3], v[2:3], v[4:5]
	v_fmac_f64_e32 v[6:7], v[6:7], v[10:11]
	v_fmac_f64_e32 v[2:3], v[12:13], v[6:7]
	v_fma_f64 v[10:11], -v[2:3], v[2:3], v[4:5]
	v_fmac_f64_e32 v[2:3], v[10:11], v[6:7]
	v_ldexp_f64 v[2:3], v[2:3], v1
	v_mov_b32_e32 v1, 0x260
	v_cmp_class_f64_e32 vcc, v[4:5], v1
	v_cndmask_b32_e32 v3, v3, v5, vcc
	v_cndmask_b32_e32 v2, v2, v4, vcc
	s_mov_b32 s12, 0
	v_mul_f64 v[4:5], v[8:9], v[2:3]
	s_mov_b32 s13, 0x40080000
	v_div_scale_f64 v[6:7], s[0:1], s[12:13], s[12:13], v[4:5]
	v_rcp_f64_e32 v[8:9], v[6:7]
	s_mov_b32 s15, 0x3fe921fb
	s_mov_b32 s14, 0x54442d18
	s_movk_i32 s0, 0xff80
	v_fma_f64 v[10:11], -v[6:7], v[8:9], 1.0
	v_fmac_f64_e32 v[8:9], v[8:9], v[10:11]
	v_fma_f64 v[10:11], -v[6:7], v[8:9], 1.0
	v_fmac_f64_e32 v[8:9], v[8:9], v[10:11]
	v_div_scale_f64 v[10:11], vcc, v[4:5], s[12:13], v[4:5]
	v_mul_f64 v[12:13], v[10:11], v[8:9]
	v_fma_f64 v[6:7], -v[6:7], v[12:13], v[10:11]
                                        ; implicit-def: $vgpr25
                                        ; implicit-def: $vgpr14_vgpr15
	s_nop 1
	v_div_fmas_f64 v[6:7], v[6:7], v[8:9], v[12:13]
	v_div_fixup_f64 v[10:11], v[6:7], s[12:13], v[4:5]
	s_mov_b32 s12, 0
	v_add_f64 v[4:5], v[10:11], s[14:15]
	s_mov_b32 s13, 0x41d00000
	v_cmp_nlt_f64_e64 s[12:13], |v[4:5]|, s[12:13]
                                        ; implicit-def: $vgpr12_vgpr13
	s_and_saveexec_b64 s[16:17], s[12:13]
	s_xor_b64 s[16:17], exec, s[16:17]
	s_cbranch_execz .LBB7_209
; %bb.204:
	s_mov_b32 s18, 0
	s_mov_b32 s19, 0x7b000000
	v_and_b32_e32 v1, 0x7fffffff, v5
	v_ldexp_f64 v[12:13], |v[4:5]|, s0
	v_cmp_ge_f64_e64 vcc, |v[4:5]|, s[18:19]
	v_trig_preop_f64 v[6:7], |v[4:5]|, 0
	v_cndmask_b32_e32 v13, v1, v13, vcc
	v_cndmask_b32_e32 v12, v4, v12, vcc
	v_trig_preop_f64 v[8:9], |v[4:5]|, 1
	v_mul_f64 v[16:17], v[6:7], v[12:13]
	v_mul_f64 v[14:15], v[8:9], v[12:13]
	v_fma_f64 v[6:7], v[6:7], v[12:13], -v[16:17]
	v_add_f64 v[18:19], v[14:15], v[6:7]
	v_add_f64 v[20:21], v[16:17], v[18:19]
	s_mov_b32 s0, 0
	v_ldexp_f64 v[22:23], v[20:21], -2
	s_mov_b32 s1, 0x7ff00000
	v_fract_f64_e32 v[26:27], v[22:23]
	v_cmp_neq_f64_e64 vcc, |v[22:23]|, s[0:1]
	v_cndmask_b32_e32 v23, 0, v27, vcc
	v_cndmask_b32_e32 v22, 0, v26, vcc
	v_add_f64 v[26:27], v[18:19], -v[14:15]
	v_add_f64 v[6:7], v[6:7], -v[26:27]
	;; [unrolled: 1-line block ×4, first 2 shown]
	v_fma_f64 v[8:9], v[8:9], v[12:13], -v[14:15]
	v_trig_preop_f64 v[14:15], |v[4:5]|, 2
	v_add_f64 v[6:7], v[6:7], v[26:27]
	v_mul_f64 v[26:27], v[14:15], v[12:13]
	v_add_f64 v[30:31], v[26:27], v[8:9]
	v_add_f64 v[32:33], v[30:31], v[6:7]
	v_add_f64 v[16:17], v[20:21], -v[16:17]
	v_add_f64 v[20:21], v[32:33], -v[30:31]
	;; [unrolled: 1-line block ×5, first 2 shown]
	v_add_f64 v[6:7], v[6:7], v[20:21]
	v_add_f64 v[20:21], v[30:31], -v[26:27]
	v_add_f64 v[8:9], v[8:9], -v[20:21]
	v_add_f64 v[20:21], v[30:31], -v[20:21]
	v_add_f64 v[20:21], v[26:27], -v[20:21]
	v_add_f64 v[8:9], v[8:9], v[20:21]
	v_add_f64 v[16:17], v[18:19], -v[16:17]
	v_add_f64 v[6:7], v[8:9], v[6:7]
	v_fma_f64 v[8:9], v[14:15], v[12:13], -v[26:27]
	v_add_f64 v[18:19], v[16:17], v[32:33]
	v_add_f64 v[6:7], v[8:9], v[6:7]
	v_ldexp_f64 v[8:9], v[22:23], 2
	v_add_f64 v[12:13], v[18:19], v[8:9]
	v_mov_b32_e32 v1, 0x40100000
	v_cmp_gt_f64_e32 vcc, 0, v[12:13]
	v_mov_b32_e32 v28, 0
	v_cndmask_b32_e32 v29, 0, v1, vcc
	v_add_f64 v[8:9], v[8:9], v[28:29]
	v_add_f64 v[12:13], v[18:19], v[8:9]
	v_cvt_i32_f64_e32 v1, v[12:13]
	v_cvt_f64_i32_e32 v[12:13], v1
	v_add_f64 v[8:9], v[8:9], -v[12:13]
	v_add_f64 v[12:13], v[18:19], v[8:9]
	v_add_f64 v[16:17], v[18:19], -v[16:17]
	v_cmp_le_f64_e32 vcc, 0.5, v[12:13]
	v_add_f64 v[16:17], v[32:33], -v[16:17]
	v_add_f64 v[8:9], v[12:13], -v[8:9]
	v_addc_co_u32_e64 v25, s[0:1], 0, v1, vcc
	v_mov_b32_e32 v1, 0x3ff00000
	v_add_f64 v[6:7], v[16:17], v[6:7]
	v_add_f64 v[8:9], v[18:19], -v[8:9]
	v_cndmask_b32_e32 v29, 0, v1, vcc
	v_add_f64 v[6:7], v[6:7], v[8:9]
	v_add_f64 v[8:9], v[12:13], -v[28:29]
	v_add_f64 v[12:13], v[8:9], v[6:7]
	v_add_f64 v[8:9], v[12:13], -v[8:9]
	s_mov_b32 s15, 0x3ff921fb
	v_add_f64 v[6:7], v[6:7], -v[8:9]
	v_mul_f64 v[8:9], v[12:13], s[14:15]
	s_mov_b32 s0, 0x33145c07
	v_fma_f64 v[14:15], v[12:13], s[14:15], -v[8:9]
	s_mov_b32 s1, 0x3c91a626
	v_fmac_f64_e32 v[14:15], s[0:1], v[12:13]
	v_fmac_f64_e32 v[14:15], s[14:15], v[6:7]
	v_add_f64 v[12:13], v[8:9], v[14:15]
	v_add_f64 v[6:7], v[12:13], -v[8:9]
	v_add_f64 v[14:15], v[14:15], -v[6:7]
	s_andn2_saveexec_b64 s[0:1], s[16:17]
	s_cbranch_execz .LBB7_211
	s_branch .LBB7_210
.LBB7_205:
	s_andn2_saveexec_b64 s[0:1], s[16:17]
	s_cbranch_execz .LBB7_207
.LBB7_206:
	s_mov_b32 s14, 0x6dc9c883
	s_mov_b32 s15, 0x3fe45f30
	v_mul_f64 v[6:7], |v[4:5]|, s[14:15]
	s_mov_b32 s14, 0x54442d18
	v_rndne_f64_e32 v[6:7], v[6:7]
	s_mov_b32 s15, 0xbff921fb
	v_fma_f64 v[8:9], v[6:7], s[14:15], |v[4:5]|
	s_mov_b32 s15, 0xbc91a626
	s_mov_b32 s14, 0x33145c00
	v_mul_f64 v[12:13], v[6:7], s[14:15]
	v_add_f64 v[18:19], v[8:9], v[12:13]
	v_fma_f64 v[14:15], s[14:15], v[6:7], v[8:9]
	s_mov_b32 s15, 0x3c91a626
	v_add_f64 v[8:9], v[8:9], -v[18:19]
	v_fma_f64 v[16:17], s[14:15], v[6:7], v[12:13]
	v_add_f64 v[8:9], v[8:9], v[12:13]
	v_add_f64 v[12:13], v[18:19], -v[14:15]
	v_add_f64 v[8:9], v[12:13], v[8:9]
	s_mov_b32 s14, 0x252049c0
	v_add_f64 v[8:9], v[8:9], -v[16:17]
	s_mov_b32 s15, 0xb97b839a
	v_fmac_f64_e32 v[8:9], s[14:15], v[6:7]
	v_add_f64 v[12:13], v[14:15], v[8:9]
	v_add_f64 v[14:15], v[12:13], -v[14:15]
	v_add_f64 v[14:15], v[8:9], -v[14:15]
	v_cvt_i32_f64_e32 v25, v[6:7]
.LBB7_207:
	s_or_b64 exec, exec, s[0:1]
                                        ; implicit-def: $vgpr1
                                        ; implicit-def: $vgpr6_vgpr7
                                        ; implicit-def: $vgpr8_vgpr9
	s_and_saveexec_b64 s[0:1], s[12:13]
	s_xor_b64 s[12:13], exec, s[0:1]
	s_cbranch_execz .LBB7_213
; %bb.208:
	s_mov_b32 s0, 0
	s_mov_b32 s1, 0x7b000000
	s_movk_i32 s14, 0xff80
	v_and_b32_e32 v1, 0x7fffffff, v5
	v_ldexp_f64 v[16:17], |v[4:5]|, s14
	v_cmp_ge_f64_e64 vcc, |v[4:5]|, s[0:1]
	v_trig_preop_f64 v[6:7], |v[4:5]|, 0
	v_cndmask_b32_e32 v17, v1, v17, vcc
	v_cndmask_b32_e32 v16, v4, v16, vcc
	v_trig_preop_f64 v[8:9], |v[4:5]|, 1
	v_mul_f64 v[20:21], v[6:7], v[16:17]
	v_mul_f64 v[18:19], v[8:9], v[16:17]
	v_fma_f64 v[6:7], v[6:7], v[16:17], -v[20:21]
	v_add_f64 v[22:23], v[18:19], v[6:7]
	v_add_f64 v[26:27], v[20:21], v[22:23]
	s_mov_b32 s0, 0
	v_ldexp_f64 v[28:29], v[26:27], -2
	s_mov_b32 s1, 0x7ff00000
	v_fract_f64_e32 v[30:31], v[28:29]
	v_cmp_neq_f64_e64 vcc, |v[28:29]|, s[0:1]
	v_cndmask_b32_e32 v29, 0, v31, vcc
	v_cndmask_b32_e32 v28, 0, v30, vcc
	v_add_f64 v[30:31], v[22:23], -v[18:19]
	v_add_f64 v[6:7], v[6:7], -v[30:31]
	;; [unrolled: 1-line block ×4, first 2 shown]
	v_fma_f64 v[8:9], v[8:9], v[16:17], -v[18:19]
	v_trig_preop_f64 v[18:19], |v[4:5]|, 2
	v_add_f64 v[6:7], v[6:7], v[30:31]
	v_mul_f64 v[30:31], v[18:19], v[16:17]
	v_add_f64 v[34:35], v[30:31], v[8:9]
	v_add_f64 v[36:37], v[34:35], v[6:7]
	v_add_f64 v[20:21], v[26:27], -v[20:21]
	v_add_f64 v[26:27], v[36:37], -v[34:35]
	;; [unrolled: 1-line block ×5, first 2 shown]
	v_add_f64 v[6:7], v[6:7], v[26:27]
	v_add_f64 v[26:27], v[34:35], -v[30:31]
	v_add_f64 v[8:9], v[8:9], -v[26:27]
	;; [unrolled: 1-line block ×4, first 2 shown]
	v_add_f64 v[8:9], v[8:9], v[26:27]
	v_add_f64 v[20:21], v[22:23], -v[20:21]
	v_add_f64 v[6:7], v[8:9], v[6:7]
	v_fma_f64 v[8:9], v[18:19], v[16:17], -v[30:31]
	v_add_f64 v[22:23], v[20:21], v[36:37]
	v_add_f64 v[6:7], v[8:9], v[6:7]
	v_ldexp_f64 v[8:9], v[28:29], 2
	v_add_f64 v[16:17], v[22:23], v[8:9]
	v_mov_b32_e32 v1, 0x40100000
	v_cmp_gt_f64_e32 vcc, 0, v[16:17]
	v_mov_b32_e32 v32, 0
	v_cndmask_b32_e32 v33, 0, v1, vcc
	v_add_f64 v[8:9], v[8:9], v[32:33]
	v_add_f64 v[16:17], v[22:23], v[8:9]
	v_cvt_i32_f64_e32 v1, v[16:17]
	v_cvt_f64_i32_e32 v[16:17], v1
	v_add_f64 v[8:9], v[8:9], -v[16:17]
	v_add_f64 v[20:21], v[22:23], -v[20:21]
	v_add_f64 v[16:17], v[22:23], v[8:9]
	v_add_f64 v[20:21], v[36:37], -v[20:21]
	v_add_f64 v[8:9], v[16:17], -v[8:9]
	v_add_f64 v[6:7], v[20:21], v[6:7]
	v_add_f64 v[8:9], v[22:23], -v[8:9]
	v_add_f64 v[6:7], v[6:7], v[8:9]
	v_cmp_le_f64_e32 vcc, 0.5, v[16:17]
	v_mov_b32_e32 v8, 0x3ff00000
	v_cndmask_b32_e32 v33, 0, v8, vcc
	v_addc_co_u32_e64 v1, s[0:1], 0, v1, vcc
	v_add_f64 v[8:9], v[16:17], -v[32:33]
	v_add_f64 v[16:17], v[8:9], v[6:7]
	s_mov_b32 s0, 0x54442d18
	v_add_f64 v[8:9], v[16:17], -v[8:9]
	s_mov_b32 s1, 0x3ff921fb
	v_add_f64 v[6:7], v[6:7], -v[8:9]
	v_mul_f64 v[8:9], v[16:17], s[0:1]
	s_mov_b32 s14, 0x33145c07
	v_fma_f64 v[18:19], v[16:17], s[0:1], -v[8:9]
	s_mov_b32 s15, 0x3c91a626
	v_fmac_f64_e32 v[18:19], s[14:15], v[16:17]
	v_fmac_f64_e32 v[18:19], s[0:1], v[6:7]
	v_add_f64 v[6:7], v[8:9], v[18:19]
	v_add_f64 v[8:9], v[6:7], -v[8:9]
	v_add_f64 v[8:9], v[18:19], -v[8:9]
	s_andn2_saveexec_b64 s[0:1], s[12:13]
	s_cbranch_execnz .LBB7_214
	s_branch .LBB7_215
.LBB7_209:
	s_andn2_saveexec_b64 s[0:1], s[16:17]
	s_cbranch_execz .LBB7_211
.LBB7_210:
	s_mov_b32 s14, 0x6dc9c883
	s_mov_b32 s15, 0x3fe45f30
	v_mul_f64 v[6:7], |v[4:5]|, s[14:15]
	s_mov_b32 s14, 0x54442d18
	v_rndne_f64_e32 v[6:7], v[6:7]
	s_mov_b32 s15, 0xbff921fb
	v_fma_f64 v[8:9], v[6:7], s[14:15], |v[4:5]|
	s_mov_b32 s15, 0xbc91a626
	s_mov_b32 s14, 0x33145c00
	v_mul_f64 v[12:13], v[6:7], s[14:15]
	v_add_f64 v[18:19], v[8:9], v[12:13]
	v_fma_f64 v[14:15], s[14:15], v[6:7], v[8:9]
	s_mov_b32 s15, 0x3c91a626
	v_add_f64 v[8:9], v[8:9], -v[18:19]
	v_fma_f64 v[16:17], s[14:15], v[6:7], v[12:13]
	v_add_f64 v[8:9], v[8:9], v[12:13]
	v_add_f64 v[12:13], v[18:19], -v[14:15]
	v_add_f64 v[8:9], v[12:13], v[8:9]
	s_mov_b32 s14, 0x252049c0
	v_add_f64 v[8:9], v[8:9], -v[16:17]
	s_mov_b32 s15, 0xb97b839a
	v_fmac_f64_e32 v[8:9], s[14:15], v[6:7]
	v_add_f64 v[12:13], v[14:15], v[8:9]
	v_add_f64 v[14:15], v[12:13], -v[14:15]
	v_add_f64 v[14:15], v[8:9], -v[14:15]
	v_cvt_i32_f64_e32 v25, v[6:7]
.LBB7_211:
	s_or_b64 exec, exec, s[0:1]
                                        ; implicit-def: $vgpr1
                                        ; implicit-def: $vgpr6_vgpr7
                                        ; implicit-def: $vgpr8_vgpr9
	s_and_saveexec_b64 s[0:1], s[12:13]
	s_xor_b64 s[12:13], exec, s[0:1]
	s_cbranch_execz .LBB7_248
; %bb.212:
	s_mov_b32 s0, 0
	s_mov_b32 s1, 0x7b000000
	s_movk_i32 s14, 0xff80
	v_and_b32_e32 v1, 0x7fffffff, v5
	v_ldexp_f64 v[16:17], |v[4:5]|, s14
	v_cmp_ge_f64_e64 vcc, |v[4:5]|, s[0:1]
	v_trig_preop_f64 v[6:7], |v[4:5]|, 0
	v_cndmask_b32_e32 v17, v1, v17, vcc
	v_cndmask_b32_e32 v16, v4, v16, vcc
	v_trig_preop_f64 v[8:9], |v[4:5]|, 1
	v_mul_f64 v[20:21], v[6:7], v[16:17]
	v_mul_f64 v[18:19], v[8:9], v[16:17]
	v_fma_f64 v[6:7], v[6:7], v[16:17], -v[20:21]
	v_add_f64 v[22:23], v[18:19], v[6:7]
	v_add_f64 v[26:27], v[20:21], v[22:23]
	s_mov_b32 s0, 0
	v_ldexp_f64 v[28:29], v[26:27], -2
	s_mov_b32 s1, 0x7ff00000
	v_fract_f64_e32 v[30:31], v[28:29]
	v_cmp_neq_f64_e64 vcc, |v[28:29]|, s[0:1]
	v_cndmask_b32_e32 v29, 0, v31, vcc
	v_cndmask_b32_e32 v28, 0, v30, vcc
	v_add_f64 v[30:31], v[22:23], -v[18:19]
	v_add_f64 v[6:7], v[6:7], -v[30:31]
	;; [unrolled: 1-line block ×4, first 2 shown]
	v_fma_f64 v[8:9], v[8:9], v[16:17], -v[18:19]
	v_trig_preop_f64 v[18:19], |v[4:5]|, 2
	v_add_f64 v[6:7], v[6:7], v[30:31]
	v_mul_f64 v[30:31], v[18:19], v[16:17]
	v_add_f64 v[34:35], v[30:31], v[8:9]
	v_add_f64 v[36:37], v[34:35], v[6:7]
	v_add_f64 v[20:21], v[26:27], -v[20:21]
	v_add_f64 v[26:27], v[36:37], -v[34:35]
	;; [unrolled: 1-line block ×5, first 2 shown]
	v_add_f64 v[6:7], v[6:7], v[26:27]
	v_add_f64 v[26:27], v[34:35], -v[30:31]
	v_add_f64 v[8:9], v[8:9], -v[26:27]
	;; [unrolled: 1-line block ×4, first 2 shown]
	v_add_f64 v[8:9], v[8:9], v[26:27]
	v_add_f64 v[20:21], v[22:23], -v[20:21]
	v_add_f64 v[6:7], v[8:9], v[6:7]
	v_fma_f64 v[8:9], v[18:19], v[16:17], -v[30:31]
	v_add_f64 v[22:23], v[20:21], v[36:37]
	v_add_f64 v[6:7], v[8:9], v[6:7]
	v_ldexp_f64 v[8:9], v[28:29], 2
	v_add_f64 v[16:17], v[22:23], v[8:9]
	v_mov_b32_e32 v1, 0x40100000
	v_cmp_gt_f64_e32 vcc, 0, v[16:17]
	v_mov_b32_e32 v32, 0
	v_cndmask_b32_e32 v33, 0, v1, vcc
	v_add_f64 v[8:9], v[8:9], v[32:33]
	v_add_f64 v[16:17], v[22:23], v[8:9]
	v_cvt_i32_f64_e32 v1, v[16:17]
	v_cvt_f64_i32_e32 v[16:17], v1
	v_add_f64 v[8:9], v[8:9], -v[16:17]
	v_add_f64 v[20:21], v[22:23], -v[20:21]
	v_add_f64 v[16:17], v[22:23], v[8:9]
	v_add_f64 v[20:21], v[36:37], -v[20:21]
	v_add_f64 v[8:9], v[16:17], -v[8:9]
	v_add_f64 v[6:7], v[20:21], v[6:7]
	v_add_f64 v[8:9], v[22:23], -v[8:9]
	v_add_f64 v[6:7], v[6:7], v[8:9]
	v_cmp_le_f64_e32 vcc, 0.5, v[16:17]
	v_mov_b32_e32 v8, 0x3ff00000
	v_cndmask_b32_e32 v33, 0, v8, vcc
	v_addc_co_u32_e64 v1, s[0:1], 0, v1, vcc
	v_add_f64 v[8:9], v[16:17], -v[32:33]
	v_add_f64 v[16:17], v[8:9], v[6:7]
	s_mov_b32 s0, 0x54442d18
	v_add_f64 v[8:9], v[16:17], -v[8:9]
	s_mov_b32 s1, 0x3ff921fb
	v_add_f64 v[6:7], v[6:7], -v[8:9]
	v_mul_f64 v[8:9], v[16:17], s[0:1]
	s_mov_b32 s14, 0x33145c07
	v_fma_f64 v[18:19], v[16:17], s[0:1], -v[8:9]
	s_mov_b32 s15, 0x3c91a626
	v_fmac_f64_e32 v[18:19], s[14:15], v[16:17]
	v_fmac_f64_e32 v[18:19], s[0:1], v[6:7]
	v_add_f64 v[6:7], v[8:9], v[18:19]
	v_add_f64 v[8:9], v[6:7], -v[8:9]
	v_add_f64 v[8:9], v[18:19], -v[8:9]
	s_andn2_saveexec_b64 s[0:1], s[12:13]
	s_cbranch_execnz .LBB7_249
	s_branch .LBB7_250
.LBB7_213:
	s_andn2_saveexec_b64 s[0:1], s[12:13]
	s_cbranch_execz .LBB7_215
.LBB7_214:
	s_mov_b32 s12, 0x6dc9c883
	s_mov_b32 s13, 0x3fe45f30
	v_mul_f64 v[6:7], |v[4:5]|, s[12:13]
	s_mov_b32 s12, 0x54442d18
	v_rndne_f64_e32 v[16:17], v[6:7]
	s_mov_b32 s13, 0xbff921fb
	v_fma_f64 v[6:7], v[16:17], s[12:13], |v[4:5]|
	s_mov_b32 s13, 0xbc91a626
	s_mov_b32 s12, 0x33145c00
	v_mul_f64 v[18:19], v[16:17], s[12:13]
	v_add_f64 v[22:23], v[6:7], v[18:19]
	v_fma_f64 v[8:9], s[12:13], v[16:17], v[6:7]
	s_mov_b32 s13, 0x3c91a626
	v_add_f64 v[6:7], v[6:7], -v[22:23]
	v_fma_f64 v[20:21], s[12:13], v[16:17], v[18:19]
	v_add_f64 v[6:7], v[6:7], v[18:19]
	v_add_f64 v[18:19], v[22:23], -v[8:9]
	v_add_f64 v[6:7], v[18:19], v[6:7]
	s_mov_b32 s12, 0x252049c0
	v_add_f64 v[18:19], v[6:7], -v[20:21]
	s_mov_b32 s13, 0xb97b839a
	v_fmac_f64_e32 v[18:19], s[12:13], v[16:17]
	v_add_f64 v[6:7], v[8:9], v[18:19]
	v_add_f64 v[8:9], v[6:7], -v[8:9]
	v_add_f64 v[8:9], v[18:19], -v[8:9]
	v_cvt_i32_f64_e32 v1, v[16:17]
.LBB7_215:
	s_or_b64 exec, exec, s[0:1]
	v_div_scale_f64 v[16:17], s[0:1], v[10:11], v[10:11], 1.0
	v_rcp_f64_e32 v[18:19], v[16:17]
	v_div_scale_f64 v[20:21], vcc, 1.0, v[10:11], 1.0
	v_mov_b32_e32 v26, 0xaf76e73b
	v_fma_f64 v[22:23], -v[16:17], v[18:19], 1.0
	v_fmac_f64_e32 v[18:19], v[18:19], v[22:23]
	v_fma_f64 v[22:23], -v[16:17], v[18:19], 1.0
	v_fmac_f64_e32 v[18:19], v[18:19], v[22:23]
	v_mul_f64 v[22:23], v[20:21], v[18:19]
	v_fma_f64 v[16:17], -v[16:17], v[22:23], v[20:21]
	v_div_fmas_f64 v[16:17], v[16:17], v[18:19], v[22:23]
	v_div_fixup_f64 v[10:11], v[16:17], v[10:11], 1.0
	v_mul_f64 v[16:17], v[10:11], v[10:11]
	v_mov_b32_e32 v18, 0xd50ae6fb
	v_mov_b32_e32 v19, 0xbfc0db6c
	v_fmac_f64_e32 v[18:19], 0, v[16:17]
	v_mov_b32_e32 v20, 0x98566852
	v_mov_b32_e32 v21, 0xbfe40bee
	v_fmac_f64_e32 v[20:21], v[16:17], v[18:19]
	;; [unrolled: 3-line block ×15, first 2 shown]
	v_mov_b32_e32 v27, 0x3f13c8d7
	v_fmac_f64_e32 v[26:27], v[16:17], v[18:19]
	v_mov_b32_e32 v22, 0xb99518a7
	v_mov_b32_e32 v23, 0x3e9e52b9
	v_mul_f64 v[28:29], v[12:13], v[12:13]
	v_fmac_f64_e32 v[22:23], v[16:17], v[26:27]
	v_mov_b32_e32 v26, 0xf68ea2d2
	v_mov_b32_e32 v27, 0xbe52041c
	v_mul_f64 v[18:19], v[28:29], 0.5
	v_fmac_f64_e32 v[26:27], v[16:17], v[20:21]
	v_add_f64 v[20:21], -v[18:19], 1.0
	s_mov_b32 s0, 0x9037ab78
	v_add_f64 v[30:31], -v[20:21], 1.0
	s_mov_b32 s1, 0x3e21eeb6
	s_mov_b32 s12, 0x46cc5e42
	v_add_f64 v[30:31], v[30:31], -v[18:19]
	s_mov_b32 s13, 0xbda907db
	v_pk_mov_b32 v[18:19], s[0:1], s[0:1] op_sel:[0,1]
	s_mov_b32 s14, 0xa17f65f6
	v_fma_f64 v[34:35], s[12:13], v[28:29], v[18:19]
	s_mov_b32 s15, 0xbe927e4f
	s_mov_b32 s16, 0x19f4ec90
	v_fma_f64 v[34:35], v[28:29], v[34:35], s[14:15]
	s_mov_b32 s17, 0x3efa01a0
	;; [unrolled: 3-line block ×4, first 2 shown]
	v_mul_f64 v[32:33], v[28:29], v[28:29]
	v_fma_f64 v[34:35], v[28:29], v[34:35], s[20:21]
	v_fma_f64 v[30:31], v[12:13], -v[14:15], v[30:31]
	s_mov_b32 s0, 0xb42fdfa7
	v_fmac_f64_e32 v[30:31], v[32:33], v[34:35]
	s_mov_b32 s1, 0xbe5ae600
	s_mov_b32 s22, 0xf9a43bb8
	v_add_f64 v[30:31], v[20:21], v[30:31]
	s_mov_b32 s23, 0x3de5e0b2
	v_pk_mov_b32 v[20:21], s[0:1], s[0:1] op_sel:[0,1]
	s_mov_b32 s50, 0x796cde01
	v_fma_f64 v[32:33], s[22:23], v[28:29], v[20:21]
	s_mov_b32 s51, 0x3ec71de3
	s_mov_b32 s52, 0x19e83e5c
	v_fma_f64 v[32:33], v[28:29], v[32:33], s[50:51]
	s_mov_b32 s53, 0xbf2a01a0
	;; [unrolled: 3-line block ×3, first 2 shown]
	v_fma_f64 v[32:33], v[28:29], v[32:33], s[54:55]
	v_mul_f64 v[34:35], v[12:13], -v[28:29]
	v_mul_f64 v[36:37], v[14:15], 0.5
	v_fmac_f64_e32 v[36:37], v[34:35], v[32:33]
	v_fma_f64 v[14:15], v[28:29], v[36:37], -v[14:15]
	s_mov_b32 s57, 0xbfc55555
	s_mov_b32 s56, s20
	v_fmac_f64_e32 v[14:15], s[56:57], v[34:35]
	v_add_f64 v[12:13], v[12:13], -v[14:15]
	v_and_b32_e32 v14, 1, v25
	v_cmp_eq_u32_e32 vcc, 0, v14
	v_cndmask_b32_e32 v28, v30, v12, vcc
	v_cndmask_b32_e32 v12, v31, v13, vcc
	v_lshlrev_b32_e32 v13, 30, v25
	v_xor_b32_e32 v13, v13, v5
	v_and_b32_e32 v13, 0x80000000, v13
	v_xor_b32_e32 v25, v12, v13
	v_mul_f64 v[12:13], v[16:17], v[26:27]
	v_div_scale_f64 v[14:15], s[0:1], v[22:23], v[22:23], v[12:13]
	v_rcp_f64_e32 v[26:27], v[14:15]
	s_movk_i32 s61, 0x1f8
	v_cmp_class_f64_e64 s[0:1], v[4:5], s61
	v_cndmask_b32_e64 v4, 0, v28, s[0:1]
	v_fma_f64 v[28:29], -v[14:15], v[26:27], 1.0
	v_fmac_f64_e32 v[26:27], v[26:27], v[28:29]
	v_fma_f64 v[28:29], -v[14:15], v[26:27], 1.0
	v_fmac_f64_e32 v[26:27], v[26:27], v[28:29]
	v_div_scale_f64 v[28:29], vcc, v[12:13], v[22:23], v[12:13]
	v_mul_f64 v[30:31], v[28:29], v[26:27]
	v_fma_f64 v[14:15], -v[14:15], v[30:31], v[28:29]
	s_mov_b32 s62, 0
	s_nop 0
	v_div_fmas_f64 v[14:15], v[14:15], v[26:27], v[30:31]
	v_div_fixup_f64 v[12:13], v[14:15], v[22:23], v[12:13]
	v_mov_b32_e32 v14, 0xddcfbbde
	v_mov_b32_e32 v15, 0x3f943525
	v_fmac_f64_e32 v[14:15], 0, v[16:17]
	v_mov_b32_e32 v22, 0x6437b7
	v_mov_b32_e32 v23, 0x3fd907d5
	v_fmac_f64_e32 v[22:23], v[16:17], v[14:15]
	;; [unrolled: 3-line block ×17, first 2 shown]
	v_mov_b32_e32 v22, 0x6be393bb
	v_mov_b32_e32 v23, 0x3f70e704
	s_brev_b32 s63, 8
	v_fmac_f64_e32 v[22:23], v[16:17], v[26:27]
	v_mov_b32_e32 v26, 0xd603a5a0
	v_mov_b32_e32 v27, 0x3f1a8b61
	v_cmp_gt_f64_e32 vcc, s[62:63], v[2:3]
	v_fmac_f64_e32 v[26:27], v[16:17], v[22:23]
	v_cndmask_b32_e64 v22, 0, 1, vcc
	v_lshlrev_b32_e32 v22, 8, v22
	v_ldexp_f64 v[2:3], v[2:3], v22
	v_rsq_f64_e32 v[22:23], v[2:3]
	v_mov_b32_e32 v28, 0xdb0724e8
	v_mov_b32_e32 v29, 0x3eb3a845
	v_fmac_f64_e32 v[28:29], v[16:17], v[26:27]
	v_mul_f64 v[26:27], v[2:3], v[22:23]
	v_mul_f64 v[22:23], v[22:23], 0.5
	v_fma_f64 v[30:31], -v[22:23], v[26:27], 0.5
	v_fmac_f64_e32 v[26:27], v[26:27], v[30:31]
	v_fma_f64 v[32:33], -v[26:27], v[26:27], v[2:3]
	v_fmac_f64_e32 v[22:23], v[22:23], v[30:31]
	v_fmac_f64_e32 v[26:27], v[32:33], v[22:23]
	v_fma_f64 v[30:31], -v[26:27], v[26:27], v[2:3]
	v_mov_b32_e32 v34, 0x7ff80000
	v_fmac_f64_e32 v[26:27], v[30:31], v[22:23]
	v_mov_b32_e32 v22, 0xffffff80
	v_cndmask_b32_e64 v5, v34, v25, s[0:1]
	v_cndmask_b32_e32 v22, 0, v22, vcc
	v_mov_b32_e32 v25, 0x260
	v_ldexp_f64 v[22:23], v[26:27], v22
	v_cmp_class_f64_e32 vcc, v[2:3], v25
	s_mov_b32 s62, 0x50429b6d
	v_cndmask_b32_e32 v3, v23, v3, vcc
	v_cndmask_b32_e32 v2, v22, v2, vcc
	s_mov_b32 s63, 0x3fe20dd7
	v_div_scale_f64 v[22:23], s[64:65], v[2:3], v[2:3], s[62:63]
	v_rcp_f64_e32 v[26:27], v[22:23]
	v_mov_b32_e32 v30, 0x3dd589d4
	v_mov_b32_e32 v31, 0x3e351fc7
	v_fmac_f64_e32 v[30:31], v[16:17], v[28:29]
	v_fma_f64 v[16:17], -v[22:23], v[26:27], 1.0
	v_fmac_f64_e32 v[26:27], v[26:27], v[16:17]
	v_fma_f64 v[16:17], -v[22:23], v[26:27], 1.0
	v_fmac_f64_e32 v[26:27], v[26:27], v[16:17]
	v_div_scale_f64 v[16:17], vcc, s[62:63], v[2:3], s[62:63]
	v_mul_f64 v[28:29], v[16:17], v[26:27]
	v_fma_f64 v[16:17], -v[22:23], v[28:29], v[16:17]
	v_add_f64 v[12:13], v[12:13], 1.0
	s_nop 0
	v_div_fmas_f64 v[16:17], v[16:17], v[26:27], v[28:29]
	v_div_fixup_f64 v[2:3], v[16:17], v[2:3], s[62:63]
	v_mul_f64 v[16:17], v[6:7], v[6:7]
	v_mul_f64 v[22:23], v[16:17], 0.5
	v_fmac_f64_e32 v[18:19], s[12:13], v[16:17]
	v_add_f64 v[26:27], -v[22:23], 1.0
	v_fma_f64 v[18:19], v[16:17], v[18:19], s[14:15]
	v_add_f64 v[28:29], -v[26:27], 1.0
	v_fma_f64 v[18:19], v[16:17], v[18:19], s[16:17]
	v_add_f64 v[22:23], v[28:29], -v[22:23]
	v_fma_f64 v[18:19], v[16:17], v[18:19], s[18:19]
	v_fmac_f64_e32 v[20:21], s[22:23], v[16:17]
	v_mul_f64 v[28:29], v[16:17], v[16:17]
	v_fma_f64 v[18:19], v[16:17], v[18:19], s[20:21]
	v_fma_f64 v[22:23], v[6:7], -v[8:9], v[22:23]
	v_fma_f64 v[20:21], v[16:17], v[20:21], s[50:51]
	v_fmac_f64_e32 v[22:23], v[28:29], v[18:19]
	v_fma_f64 v[20:21], v[16:17], v[20:21], s[52:53]
	v_add_f64 v[18:19], v[26:27], v[22:23]
	v_fma_f64 v[20:21], v[16:17], v[20:21], s[54:55]
	v_mul_f64 v[22:23], v[6:7], -v[16:17]
	v_mul_f64 v[26:27], v[8:9], 0.5
	v_fmac_f64_e32 v[26:27], v[22:23], v[20:21]
	v_fma_f64 v[8:9], v[16:17], v[26:27], -v[8:9]
	v_fmac_f64_e32 v[8:9], s[56:57], v[22:23]
	v_add_f64 v[6:7], v[6:7], -v[8:9]
	v_and_b32_e32 v8, 1, v1
	v_xor_b32_e32 v7, 0x80000000, v7
	v_cmp_eq_u32_e32 vcc, 0, v8
	v_cndmask_b32_e32 v16, v6, v18, vcc
	v_cndmask_b32_e32 v17, v7, v19, vcc
	v_mul_f64 v[6:7], v[10:11], v[14:15]
	v_div_scale_f64 v[8:9], s[12:13], v[30:31], v[30:31], v[6:7]
	v_rcp_f64_e32 v[10:11], v[8:9]
	v_lshlrev_b32_e32 v1, 30, v1
	v_and_b32_e32 v1, 0x80000000, v1
	v_xor_b32_e32 v1, v17, v1
	v_cndmask_b32_e64 v14, 0, v16, s[0:1]
	v_fma_f64 v[16:17], -v[8:9], v[10:11], 1.0
	v_fmac_f64_e32 v[10:11], v[10:11], v[16:17]
	v_fma_f64 v[16:17], -v[8:9], v[10:11], 1.0
	v_fmac_f64_e32 v[10:11], v[10:11], v[16:17]
	v_div_scale_f64 v[16:17], vcc, v[6:7], v[30:31], v[6:7]
	v_mul_f64 v[18:19], v[16:17], v[10:11]
	v_fma_f64 v[8:9], -v[8:9], v[18:19], v[16:17]
	v_cndmask_b32_e64 v15, v34, v1, s[0:1]
	s_nop 0
	v_div_fmas_f64 v[8:9], v[8:9], v[10:11], v[18:19]
	v_div_fixup_f64 v[6:7], v[8:9], v[30:31], v[6:7]
	v_mul_f64 v[6:7], v[6:7], v[14:15]
	v_fma_f64 v[4:5], v[12:13], v[4:5], -v[6:7]
	v_mul_f64 v[4:5], v[2:3], v[4:5]
.LBB7_216:
	s_or_b64 exec, exec, s[10:11]
.LBB7_217:
	s_or_b64 exec, exec, s[8:9]
.LBB7_218:
	s_or_b64 exec, exec, s[2:3]
	v_add_u32_e32 v24, 0x80, v24
	global_store_dwordx2 v0, v[4:5], s[24:25]
	s_or_b64 exec, exec, s[48:49]
	v_cmp_gt_i32_e32 vcc, s59, v24
	s_and_saveexec_b64 s[48:49], vcc
	s_cbranch_execnz .LBB7_17
.LBB7_219:
	s_or_b64 exec, exec, s[48:49]
	v_cmp_gt_i32_e32 vcc, s59, v24
	s_and_saveexec_b64 s[48:49], vcc
	s_cbranch_execz .LBB7_254
.LBB7_220:
	s_andn2_b64 vcc, exec, s[6:7]
	s_cbranch_vccnz .LBB7_226
; %bb.221:
	s_mov_b32 s50, 0
	s_andn2_b64 vcc, exec, s[46:47]
	v_mov_b32_e32 v2, 0
	v_mov_b32_e32 v0, 0
	s_cbranch_vccnz .LBB7_232
; %bb.222:
	s_add_i32 s56, s60, 1
	s_cmp_eq_u32 s58, 2
	s_cbranch_scc1 .LBB7_227
; %bb.223:
	s_and_b32 s50, s56, 28
	s_mov_b32 s51, 0
	v_mov_b32_e32 v0, 0
	s_mov_b64 s[52:53], s[4:5]
	s_mov_b64 s[54:55], s[44:45]
	v_mov_b32_e32 v3, v24
	v_mov_b32_e32 v2, 0
.LBB7_224:                              ; =>This Inner Loop Header: Depth=1
	s_load_dwordx8 s[16:23], s[52:53], 0x4
	s_load_dwordx4 s[0:3], s[52:53], 0x24
	s_load_dwordx8 s[8:15], s[54:55], 0x0
	s_add_u32 s52, s52, 48
	s_addc_u32 s53, s53, 0
	s_waitcnt lgkmcnt(0)
	v_mul_hi_u32 v1, s17, v3
	v_add_u32_e32 v1, v3, v1
	v_lshrrev_b32_e32 v1, s18, v1
	v_mul_lo_u32 v4, v1, s16
	v_mul_hi_u32 v5, s20, v1
	v_sub_u32_e32 v3, v3, v4
	v_add_u32_e32 v4, v1, v5
	v_lshrrev_b32_e32 v4, s21, v4
	v_mul_lo_u32 v6, v4, s19
	v_mul_hi_u32 v7, s23, v4
	v_sub_u32_e32 v1, v1, v6
	v_add_u32_e32 v6, v4, v7
	v_mul_lo_u32 v5, v3, s9
	v_mul_lo_u32 v3, v3, s8
	;; [unrolled: 1-line block ×4, first 2 shown]
	v_lshrrev_b32_e32 v6, s0, v6
	v_add3_u32 v0, v3, v0, v1
	v_mul_hi_u32 v3, s2, v6
	v_add_u32_e32 v3, v6, v3
	v_lshrrev_b32_e32 v3, s3, v3
	s_add_i32 s51, s51, 4
	v_add3_u32 v1, v5, v2, v7
	v_mul_lo_u32 v2, v6, s22
	v_mul_lo_u32 v5, v3, s1
	s_add_u32 s54, s54, 32
	v_sub_u32_e32 v2, v4, v2
	v_sub_u32_e32 v5, v6, v5
	s_addc_u32 s55, s55, 0
	v_mul_lo_u32 v4, v2, s12
	v_mul_lo_u32 v2, v2, s13
	;; [unrolled: 1-line block ×4, first 2 shown]
	s_cmp_eq_u32 s50, s51
	v_add3_u32 v2, v2, v1, v5
	v_add3_u32 v0, v4, v0, v6
	s_cbranch_scc0 .LBB7_224
; %bb.225:
	v_mov_b32_e32 v1, v2
	s_branch .LBB7_228
.LBB7_226:
                                        ; implicit-def: $vgpr2
                                        ; implicit-def: $vgpr0
	s_branch .LBB7_233
.LBB7_227:
	s_mov_b32 s51, s50
	v_pk_mov_b32 v[0:1], s[50:51], s[50:51] op_sel:[0,1]
                                        ; implicit-def: $vgpr2
	v_mov_b32_e32 v3, v24
.LBB7_228:
	s_and_b32 s8, s56, 3
	s_cmp_eq_u32 s8, 0
	s_cbranch_scc1 .LBB7_232
; %bb.229:
	s_lshl_b32 s0, s50, 3
	s_add_u32 s0, s0, s4
	s_addc_u32 s1, s5, 0
	s_add_u32 s0, s0, 0xc4
	s_addc_u32 s1, s1, 0
	s_mul_i32 s2, s50, 12
	s_add_u32 s2, s4, s2
	s_addc_u32 s3, s5, 0
.LBB7_230:                              ; =>This Inner Loop Header: Depth=1
	s_load_dwordx2 s[10:11], s[2:3], 0x4
	s_load_dword s9, s[2:3], 0xc
	s_load_dwordx2 s[12:13], s[0:1], 0x0
	v_mov_b32_e32 v2, v1
	s_add_u32 s2, s2, 12
	s_waitcnt lgkmcnt(0)
	v_mul_hi_u32 v1, s11, v3
	v_add_u32_e32 v1, v3, v1
	v_lshrrev_b32_e32 v1, s9, v1
	s_addc_u32 s3, s3, 0
	v_mul_lo_u32 v4, v1, s10
	s_add_u32 s0, s0, 8
	v_sub_u32_e32 v6, v3, v4
	v_mov_b32_e32 v3, v1
	s_addc_u32 s1, s1, 0
	s_add_i32 s8, s8, -1
	v_mad_u64_u32 v[4:5], s[10:11], v6, s13, v[2:3]
	v_mad_u64_u32 v[0:1], s[10:11], v6, s12, v[0:1]
	s_cmp_lg_u32 s8, 0
	v_mov_b32_e32 v1, v4
	s_cbranch_scc1 .LBB7_230
; %bb.231:
	v_mov_b32_e32 v2, v1
.LBB7_232:
	s_cbranch_execnz .LBB7_235
.LBB7_233:
	s_waitcnt lgkmcnt(0)
	v_mul_hi_u32 v0, s37, v24
	v_add_u32_e32 v0, v24, v0
	v_lshrrev_b32_e32 v1, s38, v0
	v_mul_lo_u32 v0, v1, s36
	v_sub_u32_e32 v0, v24, v0
	v_mul_lo_u32 v2, v0, s29
	s_andn2_b64 vcc, exec, s[42:43]
	v_mul_lo_u32 v0, v0, s28
	s_cbranch_vccnz .LBB7_235
; %bb.234:
	v_mul_hi_u32 v3, s40, v1
	v_add_u32_e32 v3, v1, v3
	v_lshrrev_b32_e32 v3, s41, v3
	v_mul_lo_u32 v3, v3, s39
	v_sub_u32_e32 v3, v1, v3
	v_mad_u64_u32 v[0:1], s[0:1], v3, s30, v[0:1]
	v_mad_u64_u32 v[2:3], s[0:1], v3, s31, v[2:3]
.LBB7_235:
	s_waitcnt lgkmcnt(0)
	global_load_dwordx2 v[2:3], v2, s[26:27]
	s_mov_b32 s0, 0
	s_mov_b32 s1, 0x7ff00000
	v_mov_b32_e32 v4, 0
	v_mov_b32_e32 v5, 0x7ff80000
	s_waitcnt vmcnt(0)
	v_cmp_neq_f64_e64 s[0:1], |v[2:3]|, s[0:1]
	s_and_saveexec_b64 s[2:3], s[0:1]
	s_cbranch_execz .LBB7_266
; %bb.236:
	s_mov_b32 s0, 0x872b020c
	s_mov_b32 s1, 0x4059f916
	v_cmp_nlt_f64_e32 vcc, s[0:1], v[2:3]
	v_pk_mov_b32 v[4:5], 0, 0
	s_and_saveexec_b64 s[8:9], vcc
	s_cbranch_execz .LBB7_265
; %bb.237:
	s_mov_b32 s1, 0xc000b851
	s_mov_b32 s0, 0xeb851eb8
	v_cmp_ngt_f64_e32 vcc, s[0:1], v[2:3]
                                        ; implicit-def: $vgpr4_vgpr5
	s_and_saveexec_b64 s[10:11], vcc
	s_xor_b64 s[10:11], exec, s[10:11]
	s_cbranch_execz .LBB7_245
; %bb.238:
	s_mov_b32 s1, 0x4000b851
	v_cmp_nle_f64_e64 s[12:13], s[0:1], v[2:3]
	v_cmp_le_f64_e32 vcc, s[0:1], v[2:3]
	v_pk_mov_b32 v[4:5], 0, 0
	s_mov_b64 s[0:1], s[12:13]
	s_and_saveexec_b64 s[14:15], vcc
	s_cbranch_execz .LBB7_240
; %bb.239:
	s_mov_b32 s0, 0
	s_brev_b32 s1, 8
	v_cmp_gt_f64_e32 vcc, s[0:1], v[2:3]
	v_cndmask_b32_e64 v1, 0, 1, vcc
	v_lshlrev_b32_e32 v1, 8, v1
	v_ldexp_f64 v[4:5], v[2:3], v1
	v_rsq_f64_e32 v[6:7], v[4:5]
	v_mov_b32_e32 v1, 0xffffff80
	v_mov_b32_e32 v20, 0x260
	v_add_f64 v[8:9], v[2:3], v[2:3]
	v_mul_f64 v[10:11], v[4:5], v[6:7]
	v_mul_f64 v[6:7], v[6:7], 0.5
	v_fma_f64 v[12:13], -v[6:7], v[10:11], 0.5
	v_fmac_f64_e32 v[10:11], v[10:11], v[12:13]
	v_fma_f64 v[14:15], -v[10:11], v[10:11], v[4:5]
	v_fmac_f64_e32 v[6:7], v[6:7], v[12:13]
	v_fmac_f64_e32 v[10:11], v[14:15], v[6:7]
	v_fma_f64 v[12:13], -v[10:11], v[10:11], v[4:5]
	v_fmac_f64_e32 v[10:11], v[12:13], v[6:7]
	v_cndmask_b32_e32 v6, 0, v1, vcc
	v_ldexp_f64 v[6:7], v[10:11], v6
	v_cmp_class_f64_e32 vcc, v[4:5], v20
	v_cndmask_b32_e32 v7, v7, v5, vcc
	v_cndmask_b32_e32 v6, v6, v4, vcc
	s_mov_b32 s16, 0
	v_mul_f64 v[4:5], v[8:9], v[6:7]
	s_mov_b32 s17, 0x40080000
	v_div_scale_f64 v[8:9], s[18:19], s[16:17], s[16:17], v[4:5]
	v_rcp_f64_e32 v[10:11], v[8:9]
	v_fma_f64 v[12:13], -v[8:9], v[10:11], 1.0
	v_fmac_f64_e32 v[10:11], v[10:11], v[12:13]
	v_fma_f64 v[12:13], -v[8:9], v[10:11], 1.0
	v_fmac_f64_e32 v[10:11], v[10:11], v[12:13]
	v_div_scale_f64 v[12:13], vcc, v[4:5], s[16:17], v[4:5]
	v_mul_f64 v[14:15], v[12:13], v[10:11]
	v_fma_f64 v[8:9], -v[8:9], v[14:15], v[12:13]
	s_nop 1
	v_div_fmas_f64 v[8:9], v[8:9], v[10:11], v[14:15]
	v_div_fixup_f64 v[4:5], v[8:9], s[16:17], v[4:5]
	v_div_scale_f64 v[8:9], s[16:17], v[4:5], v[4:5], 1.0
	v_rcp_f64_e32 v[10:11], v[8:9]
	v_fma_f64 v[12:13], -v[8:9], v[10:11], 1.0
	v_fmac_f64_e32 v[10:11], v[10:11], v[12:13]
	v_fma_f64 v[12:13], -v[8:9], v[10:11], 1.0
	v_fmac_f64_e32 v[10:11], v[10:11], v[12:13]
	v_div_scale_f64 v[12:13], vcc, 1.0, v[4:5], 1.0
	v_mul_f64 v[14:15], v[12:13], v[10:11]
	v_fma_f64 v[8:9], -v[8:9], v[14:15], v[12:13]
	v_mov_b32_e32 v12, 0x871a9067
	s_nop 0
	v_div_fmas_f64 v[8:9], v[8:9], v[10:11], v[14:15]
	v_div_fixup_f64 v[8:9], v[8:9], v[4:5], 1.0
	v_mov_b32_e32 v10, 0x2537b658
	v_mov_b32_e32 v11, 0x3fd62dae
	v_fmac_f64_e32 v[10:11], 0, v[8:9]
	v_mov_b32_e32 v13, 0x402803e3
	v_fmac_f64_e32 v[12:13], v[8:9], v[10:11]
	v_mov_b32_e32 v10, 0xde2e1e3
	v_mov_b32_e32 v11, 0x405311e5
	v_fmac_f64_e32 v[10:11], v[8:9], v[12:13]
	v_mov_b32_e32 v12, 0xee40073c
	;; [unrolled: 3-line block ×12, first 2 shown]
	v_mov_b32_e32 v13, 0x402c311b
	v_fmac_f64_e32 v[12:13], v[8:9], v[14:15]
	v_fma_f64 v[12:13], v[8:9], v[12:13], 1.0
	v_fma_f64 v[8:9], v[8:9], v[10:11], 1.0
	v_div_scale_f64 v[10:11], s[16:17], v[12:13], v[12:13], v[8:9]
	v_rcp_f64_e32 v[14:15], v[10:11]
	v_fma_f64 v[16:17], -v[10:11], v[14:15], 1.0
	v_fmac_f64_e32 v[14:15], v[14:15], v[16:17]
	v_fma_f64 v[16:17], -v[10:11], v[14:15], 1.0
	v_fmac_f64_e32 v[14:15], v[14:15], v[16:17]
	v_div_scale_f64 v[16:17], vcc, v[8:9], v[12:13], v[8:9]
	v_mul_f64 v[18:19], v[16:17], v[14:15]
	v_fma_f64 v[10:11], -v[10:11], v[18:19], v[16:17]
	s_nop 1
	v_div_fmas_f64 v[10:11], v[10:11], v[14:15], v[18:19]
	v_cmp_gt_f64_e32 vcc, s[0:1], v[6:7]
	v_div_fixup_f64 v[8:9], v[10:11], v[12:13], v[8:9]
	v_cndmask_b32_e64 v10, 0, 1, vcc
	v_lshlrev_b32_e32 v10, 8, v10
	v_ldexp_f64 v[10:11], v[6:7], v10
	v_rsq_f64_e32 v[12:13], v[10:11]
	s_mov_b32 s0, 0x50429b6d
	s_mov_b32 s1, 0x3fe20dd7
	v_mul_f64 v[6:7], v[8:9], s[0:1]
	v_mul_f64 v[8:9], v[10:11], v[12:13]
	v_mul_f64 v[12:13], v[12:13], 0.5
	v_fma_f64 v[14:15], -v[12:13], v[8:9], 0.5
	v_fmac_f64_e32 v[8:9], v[8:9], v[14:15]
	v_fma_f64 v[16:17], -v[8:9], v[8:9], v[10:11]
	v_fmac_f64_e32 v[12:13], v[12:13], v[14:15]
	v_fmac_f64_e32 v[8:9], v[16:17], v[12:13]
	v_fma_f64 v[14:15], -v[8:9], v[8:9], v[10:11]
	v_fmac_f64_e32 v[8:9], v[14:15], v[12:13]
	v_cndmask_b32_e32 v1, 0, v1, vcc
	s_mov_b32 s0, 0x652b82fe
	v_ldexp_f64 v[8:9], v[8:9], v1
	v_cmp_class_f64_e32 vcc, v[10:11], v20
	s_mov_b32 s1, 0x3ff71547
	v_cndmask_b32_e32 v9, v9, v11, vcc
	v_cndmask_b32_e32 v8, v8, v10, vcc
	v_mul_f64 v[10:11], v[4:5], s[0:1]
	s_mov_b32 s0, 0xfefa39ef
	v_rndne_f64_e32 v[10:11], v[10:11]
	s_mov_b32 s1, 0xbfe62e42
	v_fma_f64 v[12:13], s[0:1], v[10:11], v[4:5]
	s_mov_b32 s0, 0x3b39803f
	s_mov_b32 s1, 0xbc7abc9e
	v_fmac_f64_e32 v[12:13], s[0:1], v[10:11]
	s_mov_b32 s0, 0x6a5dcb37
	v_mov_b32_e32 v14, 0xfca7ab0c
	v_mov_b32_e32 v15, 0x3e928af3
	s_mov_b32 s1, 0x3e5ade15
	v_fmac_f64_e32 v[14:15], s[0:1], v[12:13]
	v_mov_b32_e32 v16, 0x623fde64
	v_mov_b32_e32 v17, 0x3ec71dee
	v_fmac_f64_e32 v[16:17], v[12:13], v[14:15]
	v_mov_b32_e32 v14, 0x7c89e6b0
	v_mov_b32_e32 v15, 0x3efa0199
	;; [unrolled: 3-line block ×8, first 2 shown]
	s_mov_b32 s0, 0
	v_fmac_f64_e32 v[14:15], v[12:13], v[16:17]
	s_mov_b32 s1, 0x40900000
	v_fma_f64 v[14:15], v[12:13], v[14:15], 1.0
	v_cmp_nlt_f64_e32 vcc, s[0:1], v[4:5]
	s_mov_b32 s0, 0
	v_fma_f64 v[12:13], v[12:13], v[14:15], 1.0
	v_cvt_i32_f64_e32 v1, v[10:11]
	s_mov_b32 s1, 0xc090cc00
	v_ldexp_f64 v[10:11], v[12:13], v1
	v_mov_b32_e32 v1, 0x7ff00000
	v_cmp_ngt_f64_e64 s[0:1], s[0:1], v[4:5]
	v_cndmask_b32_e32 v1, v1, v11, vcc
	s_and_b64 vcc, s[0:1], vcc
	v_add_f64 v[8:9], v[8:9], v[8:9]
	v_cndmask_b32_e64 v5, 0, v1, s[0:1]
	v_cndmask_b32_e32 v4, 0, v10, vcc
	v_mul_f64 v[4:5], v[8:9], v[4:5]
	v_div_scale_f64 v[8:9], s[0:1], v[4:5], v[4:5], v[6:7]
	v_rcp_f64_e32 v[10:11], v[8:9]
	s_mov_b32 s0, 0xfd0a823a
	s_mov_b32 s1, 0x4020a402
	v_fma_f64 v[12:13], -v[8:9], v[10:11], 1.0
	v_fmac_f64_e32 v[10:11], v[10:11], v[12:13]
	v_fma_f64 v[12:13], -v[8:9], v[10:11], 1.0
	v_fmac_f64_e32 v[10:11], v[10:11], v[12:13]
	v_div_scale_f64 v[12:13], vcc, v[6:7], v[4:5], v[6:7]
	v_mul_f64 v[14:15], v[12:13], v[10:11]
	v_fma_f64 v[8:9], -v[8:9], v[14:15], v[12:13]
	s_nop 1
	v_div_fmas_f64 v[8:9], v[8:9], v[10:11], v[14:15]
	v_cmp_nlt_f64_e32 vcc, s[0:1], v[2:3]
	s_andn2_b64 s[0:1], s[12:13], exec
	s_and_b64 s[16:17], vcc, exec
	v_div_fixup_f64 v[4:5], v[8:9], v[4:5], v[6:7]
	s_or_b64 s[0:1], s[0:1], s[16:17]
.LBB7_240:
	s_or_b64 exec, exec, s[14:15]
	s_and_saveexec_b64 s[14:15], s[0:1]
	s_cbranch_execz .LBB7_244
; %bb.241:
	v_mov_b32_e32 v14, 0
	v_mul_f64 v[6:7], v[2:3], v[2:3]
	v_mov_b32_e32 v15, 0x3ff00000
	s_mov_b32 s18, 0
	v_mul_f64 v[8:9], v[2:3], v[6:7]
	s_mov_b64 s[16:17], 0
	s_mov_b32 s19, 0x3cb00000
	v_pk_mov_b32 v[12:13], v[14:15], v[14:15] op_sel:[0,1]
	v_pk_mov_b32 v[10:11], v[2:3], v[2:3] op_sel:[0,1]
	;; [unrolled: 1-line block ×3, first 2 shown]
.LBB7_242:                              ; =>This Inner Loop Header: Depth=1
	v_mul_f64 v[14:15], v[8:9], v[14:15]
	v_add_f64 v[16:17], v[12:13], 1.0
	v_mul_f64 v[2:3], v[8:9], v[2:3]
	v_div_scale_f64 v[18:19], s[0:1], v[16:17], v[16:17], v[14:15]
	v_add_f64 v[22:23], v[16:17], 1.0
	v_rcp_f64_e32 v[26:27], v[18:19]
	v_div_scale_f64 v[28:29], s[0:1], v[22:23], v[22:23], v[2:3]
	v_rcp_f64_e32 v[32:33], v[28:29]
	v_fma_f64 v[34:35], -v[18:19], v[26:27], 1.0
	v_fmac_f64_e32 v[26:27], v[26:27], v[34:35]
	v_fma_f64 v[36:37], -v[18:19], v[26:27], 1.0
	v_fma_f64 v[34:35], -v[28:29], v[32:33], 1.0
	v_fmac_f64_e32 v[32:33], v[32:33], v[34:35]
	v_div_scale_f64 v[20:21], vcc, v[14:15], v[16:17], v[14:15]
	v_fmac_f64_e32 v[26:27], v[26:27], v[36:37]
	v_fma_f64 v[34:35], -v[28:29], v[32:33], 1.0
	v_div_scale_f64 v[30:31], s[0:1], v[2:3], v[22:23], v[2:3]
	v_mul_f64 v[36:37], v[20:21], v[26:27]
	v_fmac_f64_e32 v[32:33], v[32:33], v[34:35]
	v_fma_f64 v[18:19], -v[18:19], v[36:37], v[20:21]
	v_mul_f64 v[20:21], v[30:31], v[32:33]
	v_div_fmas_f64 v[18:19], v[18:19], v[26:27], v[36:37]
	v_fma_f64 v[26:27], -v[28:29], v[20:21], v[30:31]
	s_mov_b64 vcc, s[0:1]
	v_div_fixup_f64 v[14:15], v[18:19], v[16:17], v[14:15]
	v_div_fmas_f64 v[16:17], v[26:27], v[32:33], v[20:21]
	v_div_fixup_f64 v[2:3], v[16:17], v[22:23], v[2:3]
	v_div_scale_f64 v[16:17], s[0:1], v[22:23], v[22:23], v[14:15]
	v_add_f64 v[12:13], v[22:23], 1.0
	v_rcp_f64_e32 v[20:21], v[16:17]
	v_div_scale_f64 v[26:27], s[0:1], v[12:13], v[12:13], v[2:3]
	v_rcp_f64_e32 v[30:31], v[26:27]
	v_fma_f64 v[32:33], -v[16:17], v[20:21], 1.0
	v_fmac_f64_e32 v[20:21], v[20:21], v[32:33]
	v_fma_f64 v[34:35], -v[16:17], v[20:21], 1.0
	v_fma_f64 v[32:33], -v[26:27], v[30:31], 1.0
	v_div_scale_f64 v[18:19], vcc, v[14:15], v[22:23], v[14:15]
	v_fmac_f64_e32 v[30:31], v[30:31], v[32:33]
	v_fmac_f64_e32 v[20:21], v[20:21], v[34:35]
	v_fma_f64 v[32:33], -v[26:27], v[30:31], 1.0
	v_mul_f64 v[34:35], v[18:19], v[20:21]
	v_div_scale_f64 v[28:29], s[0:1], v[2:3], v[12:13], v[2:3]
	v_fmac_f64_e32 v[30:31], v[30:31], v[32:33]
	v_fma_f64 v[16:17], -v[16:17], v[34:35], v[18:19]
	v_mul_f64 v[18:19], v[28:29], v[30:31]
	v_div_fmas_f64 v[16:17], v[16:17], v[20:21], v[34:35]
	v_fma_f64 v[20:21], -v[26:27], v[18:19], v[28:29]
	v_div_fixup_f64 v[14:15], v[16:17], v[22:23], v[14:15]
	s_mov_b64 vcc, s[0:1]
	v_div_fmas_f64 v[16:17], v[20:21], v[30:31], v[18:19]
	v_add_f64 v[6:7], v[6:7], v[14:15]
	v_div_fixup_f64 v[2:3], v[16:17], v[12:13], v[2:3]
	v_div_scale_f64 v[16:17], s[0:1], v[6:7], v[6:7], v[14:15]
	v_rcp_f64_e32 v[18:19], v[16:17]
	v_div_scale_f64 v[20:21], vcc, v[14:15], v[6:7], v[14:15]
	v_add_f64 v[10:11], v[10:11], v[2:3]
	v_fma_f64 v[22:23], -v[16:17], v[18:19], 1.0
	v_fmac_f64_e32 v[18:19], v[18:19], v[22:23]
	v_fma_f64 v[22:23], -v[16:17], v[18:19], 1.0
	v_fmac_f64_e32 v[18:19], v[18:19], v[22:23]
	v_mul_f64 v[22:23], v[20:21], v[18:19]
	v_fma_f64 v[16:17], -v[16:17], v[22:23], v[20:21]
	v_div_fmas_f64 v[16:17], v[16:17], v[18:19], v[22:23]
	v_div_fixup_f64 v[16:17], v[16:17], v[6:7], v[14:15]
	v_cmp_ngt_f64_e64 s[0:1], |v[16:17]|, s[18:19]
	s_or_b64 s[16:17], s[0:1], s[16:17]
	s_andn2_b64 exec, exec, s[16:17]
	s_cbranch_execnz .LBB7_242
; %bb.243:
	s_or_b64 exec, exec, s[16:17]
	s_mov_b32 s0, 0x42b70f8b
	s_mov_b32 s1, 0xbfd0907f
	v_mul_f64 v[2:3], v[10:11], s[0:1]
	s_mov_b32 s0, 0x962715b8
	s_mov_b32 s1, 0x3fd6b8c7
	v_fmac_f64_e32 v[2:3], s[0:1], v[6:7]
	v_cndmask_b32_e64 v5, v5, v3, s[12:13]
	v_cndmask_b32_e64 v4, v4, v2, s[12:13]
.LBB7_244:
	s_or_b64 exec, exec, s[14:15]
                                        ; implicit-def: $vgpr2_vgpr3
.LBB7_245:
	s_andn2_saveexec_b64 s[10:11], s[10:11]
	s_cbranch_execz .LBB7_264
; %bb.246:
	s_mov_b32 s0, 0
	s_brev_b32 s1, 9
	v_cmp_lt_f64_e32 vcc, s[0:1], v[2:3]
	v_cndmask_b32_e64 v1, 0, 1, vcc
	v_lshlrev_b32_e32 v1, 8, v1
	v_ldexp_f64 v[4:5], -v[2:3], v1
	v_rsq_f64_e32 v[6:7], v[4:5]
	v_mul_f64 v[8:9], v[2:3], -2.0
	v_mov_b32_e32 v1, 0xffffff80
	v_cndmask_b32_e32 v1, 0, v1, vcc
	v_mul_f64 v[2:3], v[4:5], v[6:7]
	v_mul_f64 v[6:7], v[6:7], 0.5
	v_fma_f64 v[10:11], -v[6:7], v[2:3], 0.5
	v_fmac_f64_e32 v[2:3], v[2:3], v[10:11]
	v_fma_f64 v[12:13], -v[2:3], v[2:3], v[4:5]
	v_fmac_f64_e32 v[6:7], v[6:7], v[10:11]
	v_fmac_f64_e32 v[2:3], v[12:13], v[6:7]
	v_fma_f64 v[10:11], -v[2:3], v[2:3], v[4:5]
	v_fmac_f64_e32 v[2:3], v[10:11], v[6:7]
	v_ldexp_f64 v[2:3], v[2:3], v1
	v_mov_b32_e32 v1, 0x260
	v_cmp_class_f64_e32 vcc, v[4:5], v1
	v_cndmask_b32_e32 v3, v3, v5, vcc
	v_cndmask_b32_e32 v2, v2, v4, vcc
	s_mov_b32 s12, 0
	v_mul_f64 v[4:5], v[8:9], v[2:3]
	s_mov_b32 s13, 0x40080000
	v_div_scale_f64 v[6:7], s[0:1], s[12:13], s[12:13], v[4:5]
	v_rcp_f64_e32 v[8:9], v[6:7]
	s_mov_b32 s15, 0x3fe921fb
	s_mov_b32 s14, 0x54442d18
	s_movk_i32 s0, 0xff80
	v_fma_f64 v[10:11], -v[6:7], v[8:9], 1.0
	v_fmac_f64_e32 v[8:9], v[8:9], v[10:11]
	v_fma_f64 v[10:11], -v[6:7], v[8:9], 1.0
	v_fmac_f64_e32 v[8:9], v[8:9], v[10:11]
	v_div_scale_f64 v[10:11], vcc, v[4:5], s[12:13], v[4:5]
	v_mul_f64 v[12:13], v[10:11], v[8:9]
	v_fma_f64 v[6:7], -v[6:7], v[12:13], v[10:11]
                                        ; implicit-def: $vgpr25
                                        ; implicit-def: $vgpr14_vgpr15
	s_nop 1
	v_div_fmas_f64 v[6:7], v[6:7], v[8:9], v[12:13]
	v_div_fixup_f64 v[10:11], v[6:7], s[12:13], v[4:5]
	s_mov_b32 s12, 0
	v_add_f64 v[4:5], v[10:11], s[14:15]
	s_mov_b32 s13, 0x41d00000
	v_cmp_nlt_f64_e64 s[12:13], |v[4:5]|, s[12:13]
                                        ; implicit-def: $vgpr12_vgpr13
	s_and_saveexec_b64 s[16:17], s[12:13]
	s_xor_b64 s[16:17], exec, s[16:17]
	s_cbranch_execz .LBB7_257
; %bb.247:
	s_mov_b32 s18, 0
	s_mov_b32 s19, 0x7b000000
	v_and_b32_e32 v1, 0x7fffffff, v5
	v_ldexp_f64 v[12:13], |v[4:5]|, s0
	v_cmp_ge_f64_e64 vcc, |v[4:5]|, s[18:19]
	v_trig_preop_f64 v[6:7], |v[4:5]|, 0
	v_cndmask_b32_e32 v13, v1, v13, vcc
	v_cndmask_b32_e32 v12, v4, v12, vcc
	v_trig_preop_f64 v[8:9], |v[4:5]|, 1
	v_mul_f64 v[16:17], v[6:7], v[12:13]
	v_mul_f64 v[14:15], v[8:9], v[12:13]
	v_fma_f64 v[6:7], v[6:7], v[12:13], -v[16:17]
	v_add_f64 v[18:19], v[14:15], v[6:7]
	v_add_f64 v[20:21], v[16:17], v[18:19]
	s_mov_b32 s0, 0
	v_ldexp_f64 v[22:23], v[20:21], -2
	s_mov_b32 s1, 0x7ff00000
	v_fract_f64_e32 v[26:27], v[22:23]
	v_cmp_neq_f64_e64 vcc, |v[22:23]|, s[0:1]
	v_cndmask_b32_e32 v23, 0, v27, vcc
	v_cndmask_b32_e32 v22, 0, v26, vcc
	v_add_f64 v[26:27], v[18:19], -v[14:15]
	v_add_f64 v[6:7], v[6:7], -v[26:27]
	;; [unrolled: 1-line block ×4, first 2 shown]
	v_fma_f64 v[8:9], v[8:9], v[12:13], -v[14:15]
	v_trig_preop_f64 v[14:15], |v[4:5]|, 2
	v_add_f64 v[6:7], v[6:7], v[26:27]
	v_mul_f64 v[26:27], v[14:15], v[12:13]
	v_add_f64 v[30:31], v[26:27], v[8:9]
	v_add_f64 v[32:33], v[30:31], v[6:7]
	v_add_f64 v[16:17], v[20:21], -v[16:17]
	v_add_f64 v[20:21], v[32:33], -v[30:31]
	;; [unrolled: 1-line block ×5, first 2 shown]
	v_add_f64 v[6:7], v[6:7], v[20:21]
	v_add_f64 v[20:21], v[30:31], -v[26:27]
	v_add_f64 v[8:9], v[8:9], -v[20:21]
	;; [unrolled: 1-line block ×4, first 2 shown]
	v_add_f64 v[8:9], v[8:9], v[20:21]
	v_add_f64 v[16:17], v[18:19], -v[16:17]
	v_add_f64 v[6:7], v[8:9], v[6:7]
	v_fma_f64 v[8:9], v[14:15], v[12:13], -v[26:27]
	v_add_f64 v[18:19], v[16:17], v[32:33]
	v_add_f64 v[6:7], v[8:9], v[6:7]
	v_ldexp_f64 v[8:9], v[22:23], 2
	v_add_f64 v[12:13], v[18:19], v[8:9]
	v_mov_b32_e32 v1, 0x40100000
	v_cmp_gt_f64_e32 vcc, 0, v[12:13]
	v_mov_b32_e32 v28, 0
	v_cndmask_b32_e32 v29, 0, v1, vcc
	v_add_f64 v[8:9], v[8:9], v[28:29]
	v_add_f64 v[12:13], v[18:19], v[8:9]
	v_cvt_i32_f64_e32 v1, v[12:13]
	v_cvt_f64_i32_e32 v[12:13], v1
	v_add_f64 v[8:9], v[8:9], -v[12:13]
	v_add_f64 v[12:13], v[18:19], v[8:9]
	v_add_f64 v[16:17], v[18:19], -v[16:17]
	v_cmp_le_f64_e32 vcc, 0.5, v[12:13]
	v_add_f64 v[16:17], v[32:33], -v[16:17]
	v_add_f64 v[8:9], v[12:13], -v[8:9]
	v_addc_co_u32_e64 v25, s[0:1], 0, v1, vcc
	v_mov_b32_e32 v1, 0x3ff00000
	v_add_f64 v[6:7], v[16:17], v[6:7]
	v_add_f64 v[8:9], v[18:19], -v[8:9]
	v_cndmask_b32_e32 v29, 0, v1, vcc
	v_add_f64 v[6:7], v[6:7], v[8:9]
	v_add_f64 v[8:9], v[12:13], -v[28:29]
	v_add_f64 v[12:13], v[8:9], v[6:7]
	v_add_f64 v[8:9], v[12:13], -v[8:9]
	s_mov_b32 s15, 0x3ff921fb
	v_add_f64 v[6:7], v[6:7], -v[8:9]
	v_mul_f64 v[8:9], v[12:13], s[14:15]
	s_mov_b32 s0, 0x33145c07
	v_fma_f64 v[14:15], v[12:13], s[14:15], -v[8:9]
	s_mov_b32 s1, 0x3c91a626
	v_fmac_f64_e32 v[14:15], s[0:1], v[12:13]
	v_fmac_f64_e32 v[14:15], s[14:15], v[6:7]
	v_add_f64 v[12:13], v[8:9], v[14:15]
	v_add_f64 v[6:7], v[12:13], -v[8:9]
	v_add_f64 v[14:15], v[14:15], -v[6:7]
	s_andn2_saveexec_b64 s[0:1], s[16:17]
	s_cbranch_execz .LBB7_259
	s_branch .LBB7_258
.LBB7_248:
	s_andn2_saveexec_b64 s[0:1], s[12:13]
	s_cbranch_execz .LBB7_250
.LBB7_249:
	s_mov_b32 s12, 0x6dc9c883
	s_mov_b32 s13, 0x3fe45f30
	v_mul_f64 v[6:7], |v[4:5]|, s[12:13]
	s_mov_b32 s12, 0x54442d18
	v_rndne_f64_e32 v[16:17], v[6:7]
	s_mov_b32 s13, 0xbff921fb
	v_fma_f64 v[6:7], v[16:17], s[12:13], |v[4:5]|
	s_mov_b32 s13, 0xbc91a626
	s_mov_b32 s12, 0x33145c00
	v_mul_f64 v[18:19], v[16:17], s[12:13]
	v_add_f64 v[22:23], v[6:7], v[18:19]
	v_fma_f64 v[8:9], s[12:13], v[16:17], v[6:7]
	s_mov_b32 s13, 0x3c91a626
	v_add_f64 v[6:7], v[6:7], -v[22:23]
	v_fma_f64 v[20:21], s[12:13], v[16:17], v[18:19]
	v_add_f64 v[6:7], v[6:7], v[18:19]
	v_add_f64 v[18:19], v[22:23], -v[8:9]
	v_add_f64 v[6:7], v[18:19], v[6:7]
	s_mov_b32 s12, 0x252049c0
	v_add_f64 v[18:19], v[6:7], -v[20:21]
	s_mov_b32 s13, 0xb97b839a
	v_fmac_f64_e32 v[18:19], s[12:13], v[16:17]
	v_add_f64 v[6:7], v[8:9], v[18:19]
	v_add_f64 v[8:9], v[6:7], -v[8:9]
	v_add_f64 v[8:9], v[18:19], -v[8:9]
	v_cvt_i32_f64_e32 v1, v[16:17]
.LBB7_250:
	s_or_b64 exec, exec, s[0:1]
	v_div_scale_f64 v[16:17], s[0:1], v[10:11], v[10:11], 1.0
	v_rcp_f64_e32 v[18:19], v[16:17]
	v_div_scale_f64 v[20:21], vcc, 1.0, v[10:11], 1.0
	v_mov_b32_e32 v26, 0xaf76e73b
	v_fma_f64 v[22:23], -v[16:17], v[18:19], 1.0
	v_fmac_f64_e32 v[18:19], v[18:19], v[22:23]
	v_fma_f64 v[22:23], -v[16:17], v[18:19], 1.0
	v_fmac_f64_e32 v[18:19], v[18:19], v[22:23]
	v_mul_f64 v[22:23], v[20:21], v[18:19]
	v_fma_f64 v[16:17], -v[16:17], v[22:23], v[20:21]
	v_div_fmas_f64 v[16:17], v[16:17], v[18:19], v[22:23]
	v_div_fixup_f64 v[10:11], v[16:17], v[10:11], 1.0
	v_mul_f64 v[16:17], v[10:11], v[10:11]
	v_mov_b32_e32 v18, 0xd50ae6fb
	v_mov_b32_e32 v19, 0xbfc0db6c
	v_fmac_f64_e32 v[18:19], 0, v[16:17]
	v_mov_b32_e32 v20, 0x98566852
	v_mov_b32_e32 v21, 0xbfe40bee
	v_fmac_f64_e32 v[20:21], v[16:17], v[18:19]
	;; [unrolled: 3-line block ×15, first 2 shown]
	v_mov_b32_e32 v27, 0x3f13c8d7
	v_fmac_f64_e32 v[26:27], v[16:17], v[18:19]
	v_mov_b32_e32 v22, 0xb99518a7
	v_mov_b32_e32 v23, 0x3e9e52b9
	v_mul_f64 v[28:29], v[12:13], v[12:13]
	v_fmac_f64_e32 v[22:23], v[16:17], v[26:27]
	v_mov_b32_e32 v26, 0xf68ea2d2
	v_mov_b32_e32 v27, 0xbe52041c
	v_mul_f64 v[18:19], v[28:29], 0.5
	v_fmac_f64_e32 v[26:27], v[16:17], v[20:21]
	v_add_f64 v[20:21], -v[18:19], 1.0
	s_mov_b32 s0, 0x9037ab78
	v_add_f64 v[30:31], -v[20:21], 1.0
	s_mov_b32 s1, 0x3e21eeb6
	s_mov_b32 s12, 0x46cc5e42
	v_add_f64 v[30:31], v[30:31], -v[18:19]
	s_mov_b32 s13, 0xbda907db
	v_pk_mov_b32 v[18:19], s[0:1], s[0:1] op_sel:[0,1]
	s_mov_b32 s14, 0xa17f65f6
	v_fma_f64 v[34:35], s[12:13], v[28:29], v[18:19]
	s_mov_b32 s15, 0xbe927e4f
	s_mov_b32 s16, 0x19f4ec90
	v_fma_f64 v[34:35], v[28:29], v[34:35], s[14:15]
	s_mov_b32 s17, 0x3efa01a0
	s_mov_b32 s18, 0x16c16967
	v_fma_f64 v[34:35], v[28:29], v[34:35], s[16:17]
	s_mov_b32 s19, 0xbf56c16c
	s_mov_b32 s20, 0x55555555
	v_fma_f64 v[34:35], v[28:29], v[34:35], s[18:19]
	s_mov_b32 s21, 0x3fa55555
	v_mul_f64 v[32:33], v[28:29], v[28:29]
	v_fma_f64 v[34:35], v[28:29], v[34:35], s[20:21]
	v_fma_f64 v[30:31], v[12:13], -v[14:15], v[30:31]
	s_mov_b32 s0, 0xb42fdfa7
	v_fmac_f64_e32 v[30:31], v[32:33], v[34:35]
	s_mov_b32 s1, 0xbe5ae600
	s_mov_b32 s22, 0xf9a43bb8
	v_add_f64 v[30:31], v[20:21], v[30:31]
	s_mov_b32 s23, 0x3de5e0b2
	v_pk_mov_b32 v[20:21], s[0:1], s[0:1] op_sel:[0,1]
	s_mov_b32 s50, 0x796cde01
	v_fma_f64 v[32:33], s[22:23], v[28:29], v[20:21]
	s_mov_b32 s51, 0x3ec71de3
	s_mov_b32 s52, 0x19e83e5c
	v_fma_f64 v[32:33], v[28:29], v[32:33], s[50:51]
	s_mov_b32 s53, 0xbf2a01a0
	s_mov_b32 s54, 0x11110bb3
	v_fma_f64 v[32:33], v[28:29], v[32:33], s[52:53]
	s_mov_b32 s55, 0x3f811111
	v_fma_f64 v[32:33], v[28:29], v[32:33], s[54:55]
	v_mul_f64 v[34:35], v[12:13], -v[28:29]
	v_mul_f64 v[36:37], v[14:15], 0.5
	v_fmac_f64_e32 v[36:37], v[34:35], v[32:33]
	v_fma_f64 v[14:15], v[28:29], v[36:37], -v[14:15]
	s_mov_b32 s57, 0xbfc55555
	s_mov_b32 s56, s20
	v_fmac_f64_e32 v[14:15], s[56:57], v[34:35]
	v_add_f64 v[12:13], v[12:13], -v[14:15]
	v_and_b32_e32 v14, 1, v25
	v_cmp_eq_u32_e32 vcc, 0, v14
	v_cndmask_b32_e32 v28, v30, v12, vcc
	v_cndmask_b32_e32 v12, v31, v13, vcc
	v_lshlrev_b32_e32 v13, 30, v25
	v_xor_b32_e32 v13, v13, v5
	v_and_b32_e32 v13, 0x80000000, v13
	v_xor_b32_e32 v25, v12, v13
	v_mul_f64 v[12:13], v[16:17], v[26:27]
	v_div_scale_f64 v[14:15], s[0:1], v[22:23], v[22:23], v[12:13]
	v_rcp_f64_e32 v[26:27], v[14:15]
	s_movk_i32 s61, 0x1f8
	v_cmp_class_f64_e64 s[0:1], v[4:5], s61
	v_cndmask_b32_e64 v4, 0, v28, s[0:1]
	v_fma_f64 v[28:29], -v[14:15], v[26:27], 1.0
	v_fmac_f64_e32 v[26:27], v[26:27], v[28:29]
	v_fma_f64 v[28:29], -v[14:15], v[26:27], 1.0
	v_fmac_f64_e32 v[26:27], v[26:27], v[28:29]
	v_div_scale_f64 v[28:29], vcc, v[12:13], v[22:23], v[12:13]
	v_mul_f64 v[30:31], v[28:29], v[26:27]
	v_fma_f64 v[14:15], -v[14:15], v[30:31], v[28:29]
	s_mov_b32 s62, 0
	s_nop 0
	v_div_fmas_f64 v[14:15], v[14:15], v[26:27], v[30:31]
	v_div_fixup_f64 v[12:13], v[14:15], v[22:23], v[12:13]
	v_mov_b32_e32 v14, 0xddcfbbde
	v_mov_b32_e32 v15, 0x3f943525
	v_fmac_f64_e32 v[14:15], 0, v[16:17]
	v_mov_b32_e32 v22, 0x6437b7
	v_mov_b32_e32 v23, 0x3fd907d5
	v_fmac_f64_e32 v[22:23], v[16:17], v[14:15]
	v_mov_b32_e32 v14, 0x3a2034eb
	v_mov_b32_e32 v15, 0x3ff10d83
	v_fmac_f64_e32 v[14:15], v[16:17], v[22:23]
	v_mov_b32_e32 v22, 0xa0ef1acb
	v_mov_b32_e32 v23, 0x3fee0dac
	v_fmac_f64_e32 v[22:23], v[16:17], v[14:15]
	v_mov_b32_e32 v14, 0xcea8fe1d
	v_mov_b32_e32 v15, 0x3fd67e69
	v_fmac_f64_e32 v[14:15], v[16:17], v[22:23]
	v_mov_b32_e32 v22, 0x21e90978
	v_mov_b32_e32 v23, 0x3fb03a41
	v_fmac_f64_e32 v[22:23], v[16:17], v[14:15]
	v_mov_b32_e32 v14, 0xf12f5043
	v_mov_b32_e32 v15, 0x3f77fe99
	v_fmac_f64_e32 v[14:15], v[16:17], v[22:23]
	v_mov_b32_e32 v22, 0x600e17a2
	v_mov_b32_e32 v23, 0x3f328976
	v_fmac_f64_e32 v[22:23], v[16:17], v[14:15]
	v_mov_b32_e32 v14, 0x69f8574e
	v_mov_b32_e32 v15, 0x3edd4f3d
	v_fmac_f64_e32 v[14:15], v[16:17], v[22:23]
	v_mov_b32_e32 v22, 0xbbad11c8
	v_mov_b32_e32 v23, 0x3e75ca92
	v_fmac_f64_e32 v[22:23], v[16:17], v[14:15]
	v_mov_b32_e32 v14, 0x7d97ee7a
	v_mov_b32_e32 v15, 0x3df778a4
	v_fmac_f64_e32 v[14:15], v[16:17], v[22:23]
	v_mov_b32_e32 v22, 0xf3d56b40
	v_mov_b32_e32 v23, 0x40229e2b
	v_fmac_f64_e32 v[22:23], 0, v[16:17]
	v_mov_b32_e32 v26, 0xc0ef18d4
	v_mov_b32_e32 v27, 0x4033d5d5
	v_fmac_f64_e32 v[26:27], v[16:17], v[22:23]
	v_mov_b32_e32 v22, 0x7ea7dc35
	v_mov_b32_e32 v23, 0x402f211b
	v_fmac_f64_e32 v[22:23], v[16:17], v[26:27]
	v_mov_b32_e32 v26, 0x2b79dbce
	v_mov_b32_e32 v27, 0x4015e84e
	v_fmac_f64_e32 v[26:27], v[16:17], v[22:23]
	v_mov_b32_e32 v22, 0xc195ece3
	v_mov_b32_e32 v23, 0x3fee8992
	v_fmac_f64_e32 v[22:23], v[16:17], v[26:27]
	v_mov_b32_e32 v26, 0xed64a9ee
	v_mov_b32_e32 v27, 0x3fb6221d
	v_fmac_f64_e32 v[26:27], v[16:17], v[22:23]
	v_mov_b32_e32 v22, 0x6be393bb
	v_mov_b32_e32 v23, 0x3f70e704
	s_brev_b32 s63, 8
	v_fmac_f64_e32 v[22:23], v[16:17], v[26:27]
	v_mov_b32_e32 v26, 0xd603a5a0
	v_mov_b32_e32 v27, 0x3f1a8b61
	v_cmp_gt_f64_e32 vcc, s[62:63], v[2:3]
	v_fmac_f64_e32 v[26:27], v[16:17], v[22:23]
	v_cndmask_b32_e64 v22, 0, 1, vcc
	v_lshlrev_b32_e32 v22, 8, v22
	v_ldexp_f64 v[2:3], v[2:3], v22
	v_rsq_f64_e32 v[22:23], v[2:3]
	v_mov_b32_e32 v28, 0xdb0724e8
	v_mov_b32_e32 v29, 0x3eb3a845
	v_fmac_f64_e32 v[28:29], v[16:17], v[26:27]
	v_mul_f64 v[26:27], v[2:3], v[22:23]
	v_mul_f64 v[22:23], v[22:23], 0.5
	v_fma_f64 v[30:31], -v[22:23], v[26:27], 0.5
	v_fmac_f64_e32 v[26:27], v[26:27], v[30:31]
	v_fma_f64 v[32:33], -v[26:27], v[26:27], v[2:3]
	v_fmac_f64_e32 v[22:23], v[22:23], v[30:31]
	v_fmac_f64_e32 v[26:27], v[32:33], v[22:23]
	v_fma_f64 v[30:31], -v[26:27], v[26:27], v[2:3]
	v_mov_b32_e32 v34, 0x7ff80000
	v_fmac_f64_e32 v[26:27], v[30:31], v[22:23]
	v_mov_b32_e32 v22, 0xffffff80
	v_cndmask_b32_e64 v5, v34, v25, s[0:1]
	v_cndmask_b32_e32 v22, 0, v22, vcc
	v_mov_b32_e32 v25, 0x260
	v_ldexp_f64 v[22:23], v[26:27], v22
	v_cmp_class_f64_e32 vcc, v[2:3], v25
	s_mov_b32 s62, 0x50429b6d
	v_cndmask_b32_e32 v3, v23, v3, vcc
	v_cndmask_b32_e32 v2, v22, v2, vcc
	s_mov_b32 s63, 0x3fe20dd7
	v_div_scale_f64 v[22:23], s[64:65], v[2:3], v[2:3], s[62:63]
	v_rcp_f64_e32 v[26:27], v[22:23]
	v_mov_b32_e32 v30, 0x3dd589d4
	v_mov_b32_e32 v31, 0x3e351fc7
	v_fmac_f64_e32 v[30:31], v[16:17], v[28:29]
	v_fma_f64 v[16:17], -v[22:23], v[26:27], 1.0
	v_fmac_f64_e32 v[26:27], v[26:27], v[16:17]
	v_fma_f64 v[16:17], -v[22:23], v[26:27], 1.0
	v_fmac_f64_e32 v[26:27], v[26:27], v[16:17]
	v_div_scale_f64 v[16:17], vcc, s[62:63], v[2:3], s[62:63]
	v_mul_f64 v[28:29], v[16:17], v[26:27]
	v_fma_f64 v[16:17], -v[22:23], v[28:29], v[16:17]
	v_add_f64 v[12:13], v[12:13], 1.0
	s_nop 0
	v_div_fmas_f64 v[16:17], v[16:17], v[26:27], v[28:29]
	v_div_fixup_f64 v[2:3], v[16:17], v[2:3], s[62:63]
	v_mul_f64 v[16:17], v[6:7], v[6:7]
	v_mul_f64 v[22:23], v[16:17], 0.5
	v_fmac_f64_e32 v[18:19], s[12:13], v[16:17]
	v_add_f64 v[26:27], -v[22:23], 1.0
	v_fma_f64 v[18:19], v[16:17], v[18:19], s[14:15]
	v_add_f64 v[28:29], -v[26:27], 1.0
	v_fma_f64 v[18:19], v[16:17], v[18:19], s[16:17]
	v_add_f64 v[22:23], v[28:29], -v[22:23]
	v_fma_f64 v[18:19], v[16:17], v[18:19], s[18:19]
	v_fmac_f64_e32 v[20:21], s[22:23], v[16:17]
	v_mul_f64 v[28:29], v[16:17], v[16:17]
	v_fma_f64 v[18:19], v[16:17], v[18:19], s[20:21]
	v_fma_f64 v[22:23], v[6:7], -v[8:9], v[22:23]
	v_fma_f64 v[20:21], v[16:17], v[20:21], s[50:51]
	v_fmac_f64_e32 v[22:23], v[28:29], v[18:19]
	v_fma_f64 v[20:21], v[16:17], v[20:21], s[52:53]
	v_add_f64 v[18:19], v[26:27], v[22:23]
	v_fma_f64 v[20:21], v[16:17], v[20:21], s[54:55]
	v_mul_f64 v[22:23], v[6:7], -v[16:17]
	v_mul_f64 v[26:27], v[8:9], 0.5
	v_fmac_f64_e32 v[26:27], v[22:23], v[20:21]
	v_fma_f64 v[8:9], v[16:17], v[26:27], -v[8:9]
	v_fmac_f64_e32 v[8:9], s[56:57], v[22:23]
	v_add_f64 v[6:7], v[6:7], -v[8:9]
	v_and_b32_e32 v8, 1, v1
	v_xor_b32_e32 v7, 0x80000000, v7
	v_cmp_eq_u32_e32 vcc, 0, v8
	v_cndmask_b32_e32 v16, v6, v18, vcc
	v_cndmask_b32_e32 v17, v7, v19, vcc
	v_mul_f64 v[6:7], v[10:11], v[14:15]
	v_div_scale_f64 v[8:9], s[12:13], v[30:31], v[30:31], v[6:7]
	v_rcp_f64_e32 v[10:11], v[8:9]
	v_lshlrev_b32_e32 v1, 30, v1
	v_and_b32_e32 v1, 0x80000000, v1
	v_xor_b32_e32 v1, v17, v1
	v_cndmask_b32_e64 v14, 0, v16, s[0:1]
	v_fma_f64 v[16:17], -v[8:9], v[10:11], 1.0
	v_fmac_f64_e32 v[10:11], v[10:11], v[16:17]
	v_fma_f64 v[16:17], -v[8:9], v[10:11], 1.0
	v_fmac_f64_e32 v[10:11], v[10:11], v[16:17]
	v_div_scale_f64 v[16:17], vcc, v[6:7], v[30:31], v[6:7]
	v_mul_f64 v[18:19], v[16:17], v[10:11]
	v_fma_f64 v[8:9], -v[8:9], v[18:19], v[16:17]
	v_cndmask_b32_e64 v15, v34, v1, s[0:1]
	s_nop 0
	v_div_fmas_f64 v[8:9], v[8:9], v[10:11], v[18:19]
	v_div_fixup_f64 v[6:7], v[8:9], v[30:31], v[6:7]
	v_mul_f64 v[6:7], v[6:7], v[14:15]
	v_fma_f64 v[4:5], v[12:13], v[4:5], -v[6:7]
	v_mul_f64 v[4:5], v[2:3], v[4:5]
.LBB7_251:
	s_or_b64 exec, exec, s[10:11]
.LBB7_252:
	s_or_b64 exec, exec, s[8:9]
.LBB7_253:
	s_or_b64 exec, exec, s[2:3]
	v_add_u32_e32 v24, 0x80, v24
	global_store_dwordx2 v0, v[4:5], s[24:25]
	s_or_b64 exec, exec, s[48:49]
	v_cmp_gt_i32_e32 vcc, s59, v24
	s_and_saveexec_b64 s[48:49], vcc
	s_cbranch_execnz .LBB7_220
.LBB7_254:
	s_or_b64 exec, exec, s[48:49]
	v_cmp_gt_i32_e32 vcc, s59, v24
	s_and_saveexec_b64 s[48:49], vcc
	s_cbranch_execnz .LBB7_267
.LBB7_255:
	s_or_b64 exec, exec, s[48:49]
                                        ; implicit-def: $vgpr10
                                        ; implicit-def: $vgpr24
	s_andn2_saveexec_b64 s[0:1], s[34:35]
	s_cbranch_execnz .LBB7_9
.LBB7_256:
	s_endpgm
.LBB7_257:
	s_andn2_saveexec_b64 s[0:1], s[16:17]
	s_cbranch_execz .LBB7_259
.LBB7_258:
	s_mov_b32 s14, 0x6dc9c883
	s_mov_b32 s15, 0x3fe45f30
	v_mul_f64 v[6:7], |v[4:5]|, s[14:15]
	s_mov_b32 s14, 0x54442d18
	v_rndne_f64_e32 v[6:7], v[6:7]
	s_mov_b32 s15, 0xbff921fb
	v_fma_f64 v[8:9], v[6:7], s[14:15], |v[4:5]|
	s_mov_b32 s15, 0xbc91a626
	s_mov_b32 s14, 0x33145c00
	v_mul_f64 v[12:13], v[6:7], s[14:15]
	v_add_f64 v[18:19], v[8:9], v[12:13]
	v_fma_f64 v[14:15], s[14:15], v[6:7], v[8:9]
	s_mov_b32 s15, 0x3c91a626
	v_add_f64 v[8:9], v[8:9], -v[18:19]
	v_fma_f64 v[16:17], s[14:15], v[6:7], v[12:13]
	v_add_f64 v[8:9], v[8:9], v[12:13]
	v_add_f64 v[12:13], v[18:19], -v[14:15]
	v_add_f64 v[8:9], v[12:13], v[8:9]
	s_mov_b32 s14, 0x252049c0
	v_add_f64 v[8:9], v[8:9], -v[16:17]
	s_mov_b32 s15, 0xb97b839a
	v_fmac_f64_e32 v[8:9], s[14:15], v[6:7]
	v_add_f64 v[12:13], v[14:15], v[8:9]
	v_add_f64 v[14:15], v[12:13], -v[14:15]
	v_add_f64 v[14:15], v[8:9], -v[14:15]
	v_cvt_i32_f64_e32 v25, v[6:7]
.LBB7_259:
	s_or_b64 exec, exec, s[0:1]
                                        ; implicit-def: $vgpr1
                                        ; implicit-def: $vgpr6_vgpr7
                                        ; implicit-def: $vgpr8_vgpr9
	s_and_saveexec_b64 s[0:1], s[12:13]
	s_xor_b64 s[12:13], exec, s[0:1]
	s_cbranch_execz .LBB7_261
; %bb.260:
	s_mov_b32 s0, 0
	s_mov_b32 s1, 0x7b000000
	s_movk_i32 s14, 0xff80
	v_and_b32_e32 v1, 0x7fffffff, v5
	v_ldexp_f64 v[16:17], |v[4:5]|, s14
	v_cmp_ge_f64_e64 vcc, |v[4:5]|, s[0:1]
	v_trig_preop_f64 v[6:7], |v[4:5]|, 0
	v_cndmask_b32_e32 v17, v1, v17, vcc
	v_cndmask_b32_e32 v16, v4, v16, vcc
	v_trig_preop_f64 v[8:9], |v[4:5]|, 1
	v_mul_f64 v[20:21], v[6:7], v[16:17]
	v_mul_f64 v[18:19], v[8:9], v[16:17]
	v_fma_f64 v[6:7], v[6:7], v[16:17], -v[20:21]
	v_add_f64 v[22:23], v[18:19], v[6:7]
	v_add_f64 v[26:27], v[20:21], v[22:23]
	s_mov_b32 s0, 0
	v_ldexp_f64 v[28:29], v[26:27], -2
	s_mov_b32 s1, 0x7ff00000
	v_fract_f64_e32 v[30:31], v[28:29]
	v_cmp_neq_f64_e64 vcc, |v[28:29]|, s[0:1]
	v_cndmask_b32_e32 v29, 0, v31, vcc
	v_cndmask_b32_e32 v28, 0, v30, vcc
	v_add_f64 v[30:31], v[22:23], -v[18:19]
	v_add_f64 v[6:7], v[6:7], -v[30:31]
	;; [unrolled: 1-line block ×4, first 2 shown]
	v_fma_f64 v[8:9], v[8:9], v[16:17], -v[18:19]
	v_trig_preop_f64 v[18:19], |v[4:5]|, 2
	v_add_f64 v[6:7], v[6:7], v[30:31]
	v_mul_f64 v[30:31], v[18:19], v[16:17]
	v_add_f64 v[34:35], v[30:31], v[8:9]
	v_add_f64 v[36:37], v[34:35], v[6:7]
	v_add_f64 v[20:21], v[26:27], -v[20:21]
	v_add_f64 v[26:27], v[36:37], -v[34:35]
	;; [unrolled: 1-line block ×5, first 2 shown]
	v_add_f64 v[6:7], v[6:7], v[26:27]
	v_add_f64 v[26:27], v[34:35], -v[30:31]
	v_add_f64 v[8:9], v[8:9], -v[26:27]
	;; [unrolled: 1-line block ×4, first 2 shown]
	v_add_f64 v[8:9], v[8:9], v[26:27]
	v_add_f64 v[20:21], v[22:23], -v[20:21]
	v_add_f64 v[6:7], v[8:9], v[6:7]
	v_fma_f64 v[8:9], v[18:19], v[16:17], -v[30:31]
	v_add_f64 v[22:23], v[20:21], v[36:37]
	v_add_f64 v[6:7], v[8:9], v[6:7]
	v_ldexp_f64 v[8:9], v[28:29], 2
	v_add_f64 v[16:17], v[22:23], v[8:9]
	v_mov_b32_e32 v1, 0x40100000
	v_cmp_gt_f64_e32 vcc, 0, v[16:17]
	v_mov_b32_e32 v32, 0
	v_cndmask_b32_e32 v33, 0, v1, vcc
	v_add_f64 v[8:9], v[8:9], v[32:33]
	v_add_f64 v[16:17], v[22:23], v[8:9]
	v_cvt_i32_f64_e32 v1, v[16:17]
	v_cvt_f64_i32_e32 v[16:17], v1
	v_add_f64 v[8:9], v[8:9], -v[16:17]
	v_add_f64 v[20:21], v[22:23], -v[20:21]
	v_add_f64 v[16:17], v[22:23], v[8:9]
	v_add_f64 v[20:21], v[36:37], -v[20:21]
	v_add_f64 v[8:9], v[16:17], -v[8:9]
	v_add_f64 v[6:7], v[20:21], v[6:7]
	v_add_f64 v[8:9], v[22:23], -v[8:9]
	v_add_f64 v[6:7], v[6:7], v[8:9]
	v_cmp_le_f64_e32 vcc, 0.5, v[16:17]
	v_mov_b32_e32 v8, 0x3ff00000
	v_cndmask_b32_e32 v33, 0, v8, vcc
	v_addc_co_u32_e64 v1, s[0:1], 0, v1, vcc
	v_add_f64 v[8:9], v[16:17], -v[32:33]
	v_add_f64 v[16:17], v[8:9], v[6:7]
	s_mov_b32 s0, 0x54442d18
	v_add_f64 v[8:9], v[16:17], -v[8:9]
	s_mov_b32 s1, 0x3ff921fb
	v_add_f64 v[6:7], v[6:7], -v[8:9]
	v_mul_f64 v[8:9], v[16:17], s[0:1]
	s_mov_b32 s14, 0x33145c07
	v_fma_f64 v[18:19], v[16:17], s[0:1], -v[8:9]
	s_mov_b32 s15, 0x3c91a626
	v_fmac_f64_e32 v[18:19], s[14:15], v[16:17]
	v_fmac_f64_e32 v[18:19], s[0:1], v[6:7]
	v_add_f64 v[6:7], v[8:9], v[18:19]
	v_add_f64 v[8:9], v[6:7], -v[8:9]
	v_add_f64 v[8:9], v[18:19], -v[8:9]
	s_andn2_saveexec_b64 s[0:1], s[12:13]
	s_cbranch_execnz .LBB7_262
	s_branch .LBB7_263
.LBB7_261:
	s_andn2_saveexec_b64 s[0:1], s[12:13]
	s_cbranch_execz .LBB7_263
.LBB7_262:
	s_mov_b32 s12, 0x6dc9c883
	s_mov_b32 s13, 0x3fe45f30
	v_mul_f64 v[6:7], |v[4:5]|, s[12:13]
	s_mov_b32 s12, 0x54442d18
	v_rndne_f64_e32 v[16:17], v[6:7]
	s_mov_b32 s13, 0xbff921fb
	v_fma_f64 v[6:7], v[16:17], s[12:13], |v[4:5]|
	s_mov_b32 s13, 0xbc91a626
	s_mov_b32 s12, 0x33145c00
	v_mul_f64 v[18:19], v[16:17], s[12:13]
	v_add_f64 v[22:23], v[6:7], v[18:19]
	v_fma_f64 v[8:9], s[12:13], v[16:17], v[6:7]
	s_mov_b32 s13, 0x3c91a626
	v_add_f64 v[6:7], v[6:7], -v[22:23]
	v_fma_f64 v[20:21], s[12:13], v[16:17], v[18:19]
	v_add_f64 v[6:7], v[6:7], v[18:19]
	v_add_f64 v[18:19], v[22:23], -v[8:9]
	v_add_f64 v[6:7], v[18:19], v[6:7]
	s_mov_b32 s12, 0x252049c0
	v_add_f64 v[18:19], v[6:7], -v[20:21]
	s_mov_b32 s13, 0xb97b839a
	v_fmac_f64_e32 v[18:19], s[12:13], v[16:17]
	v_add_f64 v[6:7], v[8:9], v[18:19]
	v_add_f64 v[8:9], v[6:7], -v[8:9]
	v_add_f64 v[8:9], v[18:19], -v[8:9]
	v_cvt_i32_f64_e32 v1, v[16:17]
.LBB7_263:
	s_or_b64 exec, exec, s[0:1]
	v_div_scale_f64 v[16:17], s[0:1], v[10:11], v[10:11], 1.0
	v_rcp_f64_e32 v[18:19], v[16:17]
	v_div_scale_f64 v[20:21], vcc, 1.0, v[10:11], 1.0
	v_mov_b32_e32 v26, 0xaf76e73b
	v_fma_f64 v[22:23], -v[16:17], v[18:19], 1.0
	v_fmac_f64_e32 v[18:19], v[18:19], v[22:23]
	v_fma_f64 v[22:23], -v[16:17], v[18:19], 1.0
	v_fmac_f64_e32 v[18:19], v[18:19], v[22:23]
	v_mul_f64 v[22:23], v[20:21], v[18:19]
	v_fma_f64 v[16:17], -v[16:17], v[22:23], v[20:21]
	v_div_fmas_f64 v[16:17], v[16:17], v[18:19], v[22:23]
	v_div_fixup_f64 v[10:11], v[16:17], v[10:11], 1.0
	v_mul_f64 v[16:17], v[10:11], v[10:11]
	v_mov_b32_e32 v18, 0xd50ae6fb
	v_mov_b32_e32 v19, 0xbfc0db6c
	v_fmac_f64_e32 v[18:19], 0, v[16:17]
	v_mov_b32_e32 v20, 0x98566852
	v_mov_b32_e32 v21, 0xbfe40bee
	v_fmac_f64_e32 v[20:21], v[16:17], v[18:19]
	;; [unrolled: 3-line block ×15, first 2 shown]
	v_mov_b32_e32 v27, 0x3f13c8d7
	v_fmac_f64_e32 v[26:27], v[16:17], v[18:19]
	v_mov_b32_e32 v22, 0xb99518a7
	v_mov_b32_e32 v23, 0x3e9e52b9
	v_mul_f64 v[28:29], v[12:13], v[12:13]
	v_fmac_f64_e32 v[22:23], v[16:17], v[26:27]
	v_mov_b32_e32 v26, 0xf68ea2d2
	v_mov_b32_e32 v27, 0xbe52041c
	v_mul_f64 v[18:19], v[28:29], 0.5
	v_fmac_f64_e32 v[26:27], v[16:17], v[20:21]
	v_add_f64 v[20:21], -v[18:19], 1.0
	s_mov_b32 s0, 0x9037ab78
	v_add_f64 v[30:31], -v[20:21], 1.0
	s_mov_b32 s1, 0x3e21eeb6
	s_mov_b32 s12, 0x46cc5e42
	v_add_f64 v[30:31], v[30:31], -v[18:19]
	s_mov_b32 s13, 0xbda907db
	v_pk_mov_b32 v[18:19], s[0:1], s[0:1] op_sel:[0,1]
	s_mov_b32 s14, 0xa17f65f6
	v_fma_f64 v[34:35], s[12:13], v[28:29], v[18:19]
	s_mov_b32 s15, 0xbe927e4f
	s_mov_b32 s16, 0x19f4ec90
	v_fma_f64 v[34:35], v[28:29], v[34:35], s[14:15]
	s_mov_b32 s17, 0x3efa01a0
	;; [unrolled: 3-line block ×4, first 2 shown]
	v_mul_f64 v[32:33], v[28:29], v[28:29]
	v_fma_f64 v[34:35], v[28:29], v[34:35], s[20:21]
	v_fma_f64 v[30:31], v[12:13], -v[14:15], v[30:31]
	s_mov_b32 s0, 0xb42fdfa7
	v_fmac_f64_e32 v[30:31], v[32:33], v[34:35]
	s_mov_b32 s1, 0xbe5ae600
	s_mov_b32 s22, 0xf9a43bb8
	v_add_f64 v[30:31], v[20:21], v[30:31]
	s_mov_b32 s23, 0x3de5e0b2
	v_pk_mov_b32 v[20:21], s[0:1], s[0:1] op_sel:[0,1]
	s_mov_b32 s50, 0x796cde01
	v_fma_f64 v[32:33], s[22:23], v[28:29], v[20:21]
	s_mov_b32 s51, 0x3ec71de3
	s_mov_b32 s52, 0x19e83e5c
	v_fma_f64 v[32:33], v[28:29], v[32:33], s[50:51]
	s_mov_b32 s53, 0xbf2a01a0
	;; [unrolled: 3-line block ×3, first 2 shown]
	v_fma_f64 v[32:33], v[28:29], v[32:33], s[54:55]
	v_mul_f64 v[34:35], v[12:13], -v[28:29]
	v_mul_f64 v[36:37], v[14:15], 0.5
	v_fmac_f64_e32 v[36:37], v[34:35], v[32:33]
	v_fma_f64 v[14:15], v[28:29], v[36:37], -v[14:15]
	s_mov_b32 s57, 0xbfc55555
	s_mov_b32 s56, s20
	v_fmac_f64_e32 v[14:15], s[56:57], v[34:35]
	v_add_f64 v[12:13], v[12:13], -v[14:15]
	v_and_b32_e32 v14, 1, v25
	v_cmp_eq_u32_e32 vcc, 0, v14
	v_cndmask_b32_e32 v28, v30, v12, vcc
	v_cndmask_b32_e32 v12, v31, v13, vcc
	v_lshlrev_b32_e32 v13, 30, v25
	v_xor_b32_e32 v13, v13, v5
	v_and_b32_e32 v13, 0x80000000, v13
	v_xor_b32_e32 v25, v12, v13
	v_mul_f64 v[12:13], v[16:17], v[26:27]
	v_div_scale_f64 v[14:15], s[0:1], v[22:23], v[22:23], v[12:13]
	v_rcp_f64_e32 v[26:27], v[14:15]
	s_movk_i32 s61, 0x1f8
	v_cmp_class_f64_e64 s[0:1], v[4:5], s61
	v_cndmask_b32_e64 v4, 0, v28, s[0:1]
	v_fma_f64 v[28:29], -v[14:15], v[26:27], 1.0
	v_fmac_f64_e32 v[26:27], v[26:27], v[28:29]
	v_fma_f64 v[28:29], -v[14:15], v[26:27], 1.0
	v_fmac_f64_e32 v[26:27], v[26:27], v[28:29]
	v_div_scale_f64 v[28:29], vcc, v[12:13], v[22:23], v[12:13]
	v_mul_f64 v[30:31], v[28:29], v[26:27]
	v_fma_f64 v[14:15], -v[14:15], v[30:31], v[28:29]
	s_mov_b32 s62, 0
	s_nop 0
	v_div_fmas_f64 v[14:15], v[14:15], v[26:27], v[30:31]
	v_div_fixup_f64 v[12:13], v[14:15], v[22:23], v[12:13]
	v_mov_b32_e32 v14, 0xddcfbbde
	v_mov_b32_e32 v15, 0x3f943525
	v_fmac_f64_e32 v[14:15], 0, v[16:17]
	v_mov_b32_e32 v22, 0x6437b7
	v_mov_b32_e32 v23, 0x3fd907d5
	v_fmac_f64_e32 v[22:23], v[16:17], v[14:15]
	v_mov_b32_e32 v14, 0x3a2034eb
	v_mov_b32_e32 v15, 0x3ff10d83
	v_fmac_f64_e32 v[14:15], v[16:17], v[22:23]
	v_mov_b32_e32 v22, 0xa0ef1acb
	v_mov_b32_e32 v23, 0x3fee0dac
	v_fmac_f64_e32 v[22:23], v[16:17], v[14:15]
	v_mov_b32_e32 v14, 0xcea8fe1d
	v_mov_b32_e32 v15, 0x3fd67e69
	v_fmac_f64_e32 v[14:15], v[16:17], v[22:23]
	v_mov_b32_e32 v22, 0x21e90978
	v_mov_b32_e32 v23, 0x3fb03a41
	v_fmac_f64_e32 v[22:23], v[16:17], v[14:15]
	v_mov_b32_e32 v14, 0xf12f5043
	v_mov_b32_e32 v15, 0x3f77fe99
	v_fmac_f64_e32 v[14:15], v[16:17], v[22:23]
	v_mov_b32_e32 v22, 0x600e17a2
	v_mov_b32_e32 v23, 0x3f328976
	v_fmac_f64_e32 v[22:23], v[16:17], v[14:15]
	v_mov_b32_e32 v14, 0x69f8574e
	v_mov_b32_e32 v15, 0x3edd4f3d
	v_fmac_f64_e32 v[14:15], v[16:17], v[22:23]
	v_mov_b32_e32 v22, 0xbbad11c8
	v_mov_b32_e32 v23, 0x3e75ca92
	v_fmac_f64_e32 v[22:23], v[16:17], v[14:15]
	v_mov_b32_e32 v14, 0x7d97ee7a
	v_mov_b32_e32 v15, 0x3df778a4
	v_fmac_f64_e32 v[14:15], v[16:17], v[22:23]
	v_mov_b32_e32 v22, 0xf3d56b40
	v_mov_b32_e32 v23, 0x40229e2b
	v_fmac_f64_e32 v[22:23], 0, v[16:17]
	v_mov_b32_e32 v26, 0xc0ef18d4
	v_mov_b32_e32 v27, 0x4033d5d5
	v_fmac_f64_e32 v[26:27], v[16:17], v[22:23]
	v_mov_b32_e32 v22, 0x7ea7dc35
	v_mov_b32_e32 v23, 0x402f211b
	v_fmac_f64_e32 v[22:23], v[16:17], v[26:27]
	v_mov_b32_e32 v26, 0x2b79dbce
	v_mov_b32_e32 v27, 0x4015e84e
	v_fmac_f64_e32 v[26:27], v[16:17], v[22:23]
	v_mov_b32_e32 v22, 0xc195ece3
	v_mov_b32_e32 v23, 0x3fee8992
	v_fmac_f64_e32 v[22:23], v[16:17], v[26:27]
	v_mov_b32_e32 v26, 0xed64a9ee
	v_mov_b32_e32 v27, 0x3fb6221d
	v_fmac_f64_e32 v[26:27], v[16:17], v[22:23]
	v_mov_b32_e32 v22, 0x6be393bb
	v_mov_b32_e32 v23, 0x3f70e704
	s_brev_b32 s63, 8
	v_fmac_f64_e32 v[22:23], v[16:17], v[26:27]
	v_mov_b32_e32 v26, 0xd603a5a0
	v_mov_b32_e32 v27, 0x3f1a8b61
	v_cmp_gt_f64_e32 vcc, s[62:63], v[2:3]
	v_fmac_f64_e32 v[26:27], v[16:17], v[22:23]
	v_cndmask_b32_e64 v22, 0, 1, vcc
	v_lshlrev_b32_e32 v22, 8, v22
	v_ldexp_f64 v[2:3], v[2:3], v22
	v_rsq_f64_e32 v[22:23], v[2:3]
	v_mov_b32_e32 v28, 0xdb0724e8
	v_mov_b32_e32 v29, 0x3eb3a845
	v_fmac_f64_e32 v[28:29], v[16:17], v[26:27]
	v_mul_f64 v[26:27], v[2:3], v[22:23]
	v_mul_f64 v[22:23], v[22:23], 0.5
	v_fma_f64 v[30:31], -v[22:23], v[26:27], 0.5
	v_fmac_f64_e32 v[26:27], v[26:27], v[30:31]
	v_fma_f64 v[32:33], -v[26:27], v[26:27], v[2:3]
	v_fmac_f64_e32 v[22:23], v[22:23], v[30:31]
	v_fmac_f64_e32 v[26:27], v[32:33], v[22:23]
	v_fma_f64 v[30:31], -v[26:27], v[26:27], v[2:3]
	v_mov_b32_e32 v34, 0x7ff80000
	v_fmac_f64_e32 v[26:27], v[30:31], v[22:23]
	v_mov_b32_e32 v22, 0xffffff80
	v_cndmask_b32_e64 v5, v34, v25, s[0:1]
	v_cndmask_b32_e32 v22, 0, v22, vcc
	v_mov_b32_e32 v25, 0x260
	v_ldexp_f64 v[22:23], v[26:27], v22
	v_cmp_class_f64_e32 vcc, v[2:3], v25
	s_mov_b32 s62, 0x50429b6d
	v_cndmask_b32_e32 v3, v23, v3, vcc
	v_cndmask_b32_e32 v2, v22, v2, vcc
	s_mov_b32 s63, 0x3fe20dd7
	v_div_scale_f64 v[22:23], s[64:65], v[2:3], v[2:3], s[62:63]
	v_rcp_f64_e32 v[26:27], v[22:23]
	v_mov_b32_e32 v30, 0x3dd589d4
	v_mov_b32_e32 v31, 0x3e351fc7
	v_fmac_f64_e32 v[30:31], v[16:17], v[28:29]
	v_fma_f64 v[16:17], -v[22:23], v[26:27], 1.0
	v_fmac_f64_e32 v[26:27], v[26:27], v[16:17]
	v_fma_f64 v[16:17], -v[22:23], v[26:27], 1.0
	v_fmac_f64_e32 v[26:27], v[26:27], v[16:17]
	v_div_scale_f64 v[16:17], vcc, s[62:63], v[2:3], s[62:63]
	v_mul_f64 v[28:29], v[16:17], v[26:27]
	v_fma_f64 v[16:17], -v[22:23], v[28:29], v[16:17]
	v_add_f64 v[12:13], v[12:13], 1.0
	s_nop 0
	v_div_fmas_f64 v[16:17], v[16:17], v[26:27], v[28:29]
	v_div_fixup_f64 v[2:3], v[16:17], v[2:3], s[62:63]
	v_mul_f64 v[16:17], v[6:7], v[6:7]
	v_mul_f64 v[22:23], v[16:17], 0.5
	v_fmac_f64_e32 v[18:19], s[12:13], v[16:17]
	v_add_f64 v[26:27], -v[22:23], 1.0
	v_fma_f64 v[18:19], v[16:17], v[18:19], s[14:15]
	v_add_f64 v[28:29], -v[26:27], 1.0
	v_fma_f64 v[18:19], v[16:17], v[18:19], s[16:17]
	v_add_f64 v[22:23], v[28:29], -v[22:23]
	v_fma_f64 v[18:19], v[16:17], v[18:19], s[18:19]
	v_fmac_f64_e32 v[20:21], s[22:23], v[16:17]
	v_mul_f64 v[28:29], v[16:17], v[16:17]
	v_fma_f64 v[18:19], v[16:17], v[18:19], s[20:21]
	v_fma_f64 v[22:23], v[6:7], -v[8:9], v[22:23]
	v_fma_f64 v[20:21], v[16:17], v[20:21], s[50:51]
	v_fmac_f64_e32 v[22:23], v[28:29], v[18:19]
	v_fma_f64 v[20:21], v[16:17], v[20:21], s[52:53]
	v_add_f64 v[18:19], v[26:27], v[22:23]
	v_fma_f64 v[20:21], v[16:17], v[20:21], s[54:55]
	v_mul_f64 v[22:23], v[6:7], -v[16:17]
	v_mul_f64 v[26:27], v[8:9], 0.5
	v_fmac_f64_e32 v[26:27], v[22:23], v[20:21]
	v_fma_f64 v[8:9], v[16:17], v[26:27], -v[8:9]
	v_fmac_f64_e32 v[8:9], s[56:57], v[22:23]
	v_add_f64 v[6:7], v[6:7], -v[8:9]
	v_and_b32_e32 v8, 1, v1
	v_xor_b32_e32 v7, 0x80000000, v7
	v_cmp_eq_u32_e32 vcc, 0, v8
	v_cndmask_b32_e32 v16, v6, v18, vcc
	v_cndmask_b32_e32 v17, v7, v19, vcc
	v_mul_f64 v[6:7], v[10:11], v[14:15]
	v_div_scale_f64 v[8:9], s[12:13], v[30:31], v[30:31], v[6:7]
	v_rcp_f64_e32 v[10:11], v[8:9]
	v_lshlrev_b32_e32 v1, 30, v1
	v_and_b32_e32 v1, 0x80000000, v1
	v_xor_b32_e32 v1, v17, v1
	v_cndmask_b32_e64 v14, 0, v16, s[0:1]
	v_fma_f64 v[16:17], -v[8:9], v[10:11], 1.0
	v_fmac_f64_e32 v[10:11], v[10:11], v[16:17]
	v_fma_f64 v[16:17], -v[8:9], v[10:11], 1.0
	v_fmac_f64_e32 v[10:11], v[10:11], v[16:17]
	v_div_scale_f64 v[16:17], vcc, v[6:7], v[30:31], v[6:7]
	v_mul_f64 v[18:19], v[16:17], v[10:11]
	v_fma_f64 v[8:9], -v[8:9], v[18:19], v[16:17]
	v_cndmask_b32_e64 v15, v34, v1, s[0:1]
	s_nop 0
	v_div_fmas_f64 v[8:9], v[8:9], v[10:11], v[18:19]
	v_div_fixup_f64 v[6:7], v[8:9], v[30:31], v[6:7]
	v_mul_f64 v[6:7], v[6:7], v[14:15]
	v_fma_f64 v[4:5], v[12:13], v[4:5], -v[6:7]
	v_mul_f64 v[4:5], v[2:3], v[4:5]
.LBB7_264:
	s_or_b64 exec, exec, s[10:11]
.LBB7_265:
	s_or_b64 exec, exec, s[8:9]
.LBB7_266:
	s_or_b64 exec, exec, s[2:3]
	v_add_u32_e32 v24, 0x80, v24
	global_store_dwordx2 v0, v[4:5], s[24:25]
	s_or_b64 exec, exec, s[48:49]
	v_cmp_gt_i32_e32 vcc, s59, v24
	s_and_saveexec_b64 s[48:49], vcc
	s_cbranch_execz .LBB7_255
.LBB7_267:
	s_andn2_b64 vcc, exec, s[6:7]
	s_cbranch_vccnz .LBB7_273
; %bb.268:
	s_mov_b32 s50, 0
	s_andn2_b64 vcc, exec, s[46:47]
	v_mov_b32_e32 v2, 0
	v_mov_b32_e32 v0, 0
	s_cbranch_vccnz .LBB7_279
; %bb.269:
	s_add_i32 s60, s60, 1
	s_cmp_eq_u32 s58, 2
	s_cbranch_scc1 .LBB7_274
; %bb.270:
	s_and_b32 s50, s60, 28
	s_mov_b32 s51, 0
	v_mov_b32_e32 v0, 0
	s_mov_b64 s[46:47], s[4:5]
	v_mov_b32_e32 v3, v24
	v_mov_b32_e32 v2, 0
.LBB7_271:                              ; =>This Inner Loop Header: Depth=1
	s_load_dwordx8 s[16:23], s[46:47], 0x4
	s_load_dwordx4 s[0:3], s[46:47], 0x24
	s_load_dwordx8 s[8:15], s[44:45], 0x0
	s_add_u32 s46, s46, 48
	s_addc_u32 s47, s47, 0
	s_waitcnt lgkmcnt(0)
	v_mul_hi_u32 v1, s17, v3
	v_add_u32_e32 v1, v3, v1
	v_lshrrev_b32_e32 v1, s18, v1
	v_mul_lo_u32 v4, v1, s16
	v_mul_hi_u32 v5, s20, v1
	v_sub_u32_e32 v3, v3, v4
	v_add_u32_e32 v4, v1, v5
	v_lshrrev_b32_e32 v4, s21, v4
	v_mul_lo_u32 v6, v4, s19
	v_mul_hi_u32 v7, s23, v4
	v_sub_u32_e32 v1, v1, v6
	v_add_u32_e32 v6, v4, v7
	v_mul_lo_u32 v5, v3, s9
	v_mul_lo_u32 v3, v3, s8
	;; [unrolled: 1-line block ×4, first 2 shown]
	v_lshrrev_b32_e32 v6, s0, v6
	v_add3_u32 v0, v3, v0, v1
	v_mul_hi_u32 v3, s2, v6
	v_add_u32_e32 v3, v6, v3
	v_lshrrev_b32_e32 v3, s3, v3
	s_add_i32 s51, s51, 4
	v_add3_u32 v1, v5, v2, v7
	v_mul_lo_u32 v2, v6, s22
	v_mul_lo_u32 v5, v3, s1
	s_add_u32 s44, s44, 32
	v_sub_u32_e32 v2, v4, v2
	v_sub_u32_e32 v5, v6, v5
	s_addc_u32 s45, s45, 0
	v_mul_lo_u32 v4, v2, s12
	v_mul_lo_u32 v2, v2, s13
	;; [unrolled: 1-line block ×4, first 2 shown]
	s_cmp_eq_u32 s50, s51
	v_add3_u32 v2, v2, v1, v5
	v_add3_u32 v0, v4, v0, v6
	s_cbranch_scc0 .LBB7_271
; %bb.272:
	v_mov_b32_e32 v1, v2
	s_branch .LBB7_275
.LBB7_273:
                                        ; implicit-def: $vgpr2
                                        ; implicit-def: $vgpr0
	s_branch .LBB7_280
.LBB7_274:
	s_mov_b32 s51, s50
	v_pk_mov_b32 v[0:1], s[50:51], s[50:51] op_sel:[0,1]
                                        ; implicit-def: $vgpr2
	v_mov_b32_e32 v3, v24
.LBB7_275:
	s_and_b32 s8, s60, 3
	s_cmp_eq_u32 s8, 0
	s_cbranch_scc1 .LBB7_279
; %bb.276:
	s_lshl_b32 s0, s50, 3
	s_add_u32 s0, s0, s4
	s_addc_u32 s1, s5, 0
	s_add_u32 s0, s0, 0xc4
	s_addc_u32 s1, s1, 0
	s_mul_i32 s2, s50, 12
	s_add_u32 s2, s4, s2
	s_addc_u32 s3, s5, 0
.LBB7_277:                              ; =>This Inner Loop Header: Depth=1
	s_load_dwordx2 s[10:11], s[2:3], 0x4
	s_load_dword s9, s[2:3], 0xc
	s_load_dwordx2 s[12:13], s[0:1], 0x0
	v_mov_b32_e32 v2, v1
	s_add_u32 s2, s2, 12
	s_waitcnt lgkmcnt(0)
	v_mul_hi_u32 v1, s11, v3
	v_add_u32_e32 v1, v3, v1
	v_lshrrev_b32_e32 v1, s9, v1
	s_addc_u32 s3, s3, 0
	v_mul_lo_u32 v4, v1, s10
	s_add_u32 s0, s0, 8
	v_sub_u32_e32 v6, v3, v4
	v_mov_b32_e32 v3, v1
	s_addc_u32 s1, s1, 0
	s_add_i32 s8, s8, -1
	v_mad_u64_u32 v[4:5], s[10:11], v6, s13, v[2:3]
	v_mad_u64_u32 v[0:1], s[10:11], v6, s12, v[0:1]
	s_cmp_lg_u32 s8, 0
	v_mov_b32_e32 v1, v4
	s_cbranch_scc1 .LBB7_277
; %bb.278:
	v_mov_b32_e32 v2, v1
.LBB7_279:
	s_cbranch_execnz .LBB7_282
.LBB7_280:
	s_waitcnt lgkmcnt(0)
	v_mul_hi_u32 v0, s37, v24
	v_add_u32_e32 v0, v24, v0
	v_lshrrev_b32_e32 v1, s38, v0
	v_mul_lo_u32 v0, v1, s36
	v_sub_u32_e32 v0, v24, v0
	v_mul_lo_u32 v2, v0, s29
	s_andn2_b64 vcc, exec, s[42:43]
	v_mul_lo_u32 v0, v0, s28
	s_cbranch_vccnz .LBB7_282
; %bb.281:
	v_mul_hi_u32 v3, s40, v1
	v_add_u32_e32 v3, v1, v3
	v_lshrrev_b32_e32 v3, s41, v3
	v_mul_lo_u32 v3, v3, s39
	v_sub_u32_e32 v3, v1, v3
	v_mad_u64_u32 v[0:1], s[0:1], v3, s30, v[0:1]
	v_mad_u64_u32 v[2:3], s[0:1], v3, s31, v[2:3]
.LBB7_282:
	s_waitcnt lgkmcnt(0)
	global_load_dwordx2 v[2:3], v2, s[26:27]
	s_mov_b32 s0, 0
	s_mov_b32 s1, 0x7ff00000
	v_mov_b32_e32 v4, 0
	v_mov_b32_e32 v5, 0x7ff80000
	s_waitcnt vmcnt(0)
	v_cmp_neq_f64_e64 s[0:1], |v[2:3]|, s[0:1]
	s_and_saveexec_b64 s[2:3], s[0:1]
	s_cbranch_execz .LBB7_304
; %bb.283:
	s_mov_b32 s0, 0x872b020c
	s_mov_b32 s1, 0x4059f916
	v_cmp_nlt_f64_e32 vcc, s[0:1], v[2:3]
	v_pk_mov_b32 v[4:5], 0, 0
	s_and_saveexec_b64 s[8:9], vcc
	s_cbranch_execz .LBB7_303
; %bb.284:
	s_mov_b32 s1, 0xc000b851
	s_mov_b32 s0, 0xeb851eb8
	v_cmp_ngt_f64_e32 vcc, s[0:1], v[2:3]
                                        ; implicit-def: $vgpr4_vgpr5
	s_and_saveexec_b64 s[10:11], vcc
	s_xor_b64 s[10:11], exec, s[10:11]
	s_cbranch_execz .LBB7_292
; %bb.285:
	s_mov_b32 s1, 0x4000b851
	v_cmp_nle_f64_e64 s[12:13], s[0:1], v[2:3]
	v_cmp_le_f64_e32 vcc, s[0:1], v[2:3]
	v_pk_mov_b32 v[4:5], 0, 0
	s_mov_b64 s[0:1], s[12:13]
	s_and_saveexec_b64 s[14:15], vcc
	s_cbranch_execz .LBB7_287
; %bb.286:
	s_mov_b32 s0, 0
	s_brev_b32 s1, 8
	v_cmp_gt_f64_e32 vcc, s[0:1], v[2:3]
	v_cndmask_b32_e64 v1, 0, 1, vcc
	v_lshlrev_b32_e32 v1, 8, v1
	v_ldexp_f64 v[4:5], v[2:3], v1
	v_rsq_f64_e32 v[6:7], v[4:5]
	v_mov_b32_e32 v1, 0xffffff80
	v_mov_b32_e32 v20, 0x260
	v_add_f64 v[8:9], v[2:3], v[2:3]
	v_mul_f64 v[10:11], v[4:5], v[6:7]
	v_mul_f64 v[6:7], v[6:7], 0.5
	v_fma_f64 v[12:13], -v[6:7], v[10:11], 0.5
	v_fmac_f64_e32 v[10:11], v[10:11], v[12:13]
	v_fma_f64 v[14:15], -v[10:11], v[10:11], v[4:5]
	v_fmac_f64_e32 v[6:7], v[6:7], v[12:13]
	v_fmac_f64_e32 v[10:11], v[14:15], v[6:7]
	v_fma_f64 v[12:13], -v[10:11], v[10:11], v[4:5]
	v_fmac_f64_e32 v[10:11], v[12:13], v[6:7]
	v_cndmask_b32_e32 v6, 0, v1, vcc
	v_ldexp_f64 v[6:7], v[10:11], v6
	v_cmp_class_f64_e32 vcc, v[4:5], v20
	v_cndmask_b32_e32 v7, v7, v5, vcc
	v_cndmask_b32_e32 v6, v6, v4, vcc
	s_mov_b32 s16, 0
	v_mul_f64 v[4:5], v[8:9], v[6:7]
	s_mov_b32 s17, 0x40080000
	v_div_scale_f64 v[8:9], s[18:19], s[16:17], s[16:17], v[4:5]
	v_rcp_f64_e32 v[10:11], v[8:9]
	v_fma_f64 v[12:13], -v[8:9], v[10:11], 1.0
	v_fmac_f64_e32 v[10:11], v[10:11], v[12:13]
	v_fma_f64 v[12:13], -v[8:9], v[10:11], 1.0
	v_fmac_f64_e32 v[10:11], v[10:11], v[12:13]
	v_div_scale_f64 v[12:13], vcc, v[4:5], s[16:17], v[4:5]
	v_mul_f64 v[14:15], v[12:13], v[10:11]
	v_fma_f64 v[8:9], -v[8:9], v[14:15], v[12:13]
	s_nop 1
	v_div_fmas_f64 v[8:9], v[8:9], v[10:11], v[14:15]
	v_div_fixup_f64 v[4:5], v[8:9], s[16:17], v[4:5]
	v_div_scale_f64 v[8:9], s[16:17], v[4:5], v[4:5], 1.0
	v_rcp_f64_e32 v[10:11], v[8:9]
	v_fma_f64 v[12:13], -v[8:9], v[10:11], 1.0
	v_fmac_f64_e32 v[10:11], v[10:11], v[12:13]
	v_fma_f64 v[12:13], -v[8:9], v[10:11], 1.0
	v_fmac_f64_e32 v[10:11], v[10:11], v[12:13]
	v_div_scale_f64 v[12:13], vcc, 1.0, v[4:5], 1.0
	v_mul_f64 v[14:15], v[12:13], v[10:11]
	v_fma_f64 v[8:9], -v[8:9], v[14:15], v[12:13]
	v_mov_b32_e32 v12, 0x871a9067
	s_nop 0
	v_div_fmas_f64 v[8:9], v[8:9], v[10:11], v[14:15]
	v_div_fixup_f64 v[8:9], v[8:9], v[4:5], 1.0
	v_mov_b32_e32 v10, 0x2537b658
	v_mov_b32_e32 v11, 0x3fd62dae
	v_fmac_f64_e32 v[10:11], 0, v[8:9]
	v_mov_b32_e32 v13, 0x402803e3
	v_fmac_f64_e32 v[12:13], v[8:9], v[10:11]
	v_mov_b32_e32 v10, 0xde2e1e3
	v_mov_b32_e32 v11, 0x405311e5
	v_fmac_f64_e32 v[10:11], v[8:9], v[12:13]
	v_mov_b32_e32 v12, 0xee40073c
	;; [unrolled: 3-line block ×12, first 2 shown]
	v_mov_b32_e32 v13, 0x402c311b
	v_fmac_f64_e32 v[12:13], v[8:9], v[14:15]
	v_fma_f64 v[12:13], v[8:9], v[12:13], 1.0
	v_fma_f64 v[8:9], v[8:9], v[10:11], 1.0
	v_div_scale_f64 v[10:11], s[16:17], v[12:13], v[12:13], v[8:9]
	v_rcp_f64_e32 v[14:15], v[10:11]
	v_fma_f64 v[16:17], -v[10:11], v[14:15], 1.0
	v_fmac_f64_e32 v[14:15], v[14:15], v[16:17]
	v_fma_f64 v[16:17], -v[10:11], v[14:15], 1.0
	v_fmac_f64_e32 v[14:15], v[14:15], v[16:17]
	v_div_scale_f64 v[16:17], vcc, v[8:9], v[12:13], v[8:9]
	v_mul_f64 v[18:19], v[16:17], v[14:15]
	v_fma_f64 v[10:11], -v[10:11], v[18:19], v[16:17]
	s_nop 1
	v_div_fmas_f64 v[10:11], v[10:11], v[14:15], v[18:19]
	v_cmp_gt_f64_e32 vcc, s[0:1], v[6:7]
	v_div_fixup_f64 v[8:9], v[10:11], v[12:13], v[8:9]
	v_cndmask_b32_e64 v10, 0, 1, vcc
	v_lshlrev_b32_e32 v10, 8, v10
	v_ldexp_f64 v[10:11], v[6:7], v10
	v_rsq_f64_e32 v[12:13], v[10:11]
	s_mov_b32 s0, 0x50429b6d
	s_mov_b32 s1, 0x3fe20dd7
	v_mul_f64 v[6:7], v[8:9], s[0:1]
	v_mul_f64 v[8:9], v[10:11], v[12:13]
	v_mul_f64 v[12:13], v[12:13], 0.5
	v_fma_f64 v[14:15], -v[12:13], v[8:9], 0.5
	v_fmac_f64_e32 v[8:9], v[8:9], v[14:15]
	v_fma_f64 v[16:17], -v[8:9], v[8:9], v[10:11]
	v_fmac_f64_e32 v[12:13], v[12:13], v[14:15]
	v_fmac_f64_e32 v[8:9], v[16:17], v[12:13]
	v_fma_f64 v[14:15], -v[8:9], v[8:9], v[10:11]
	v_fmac_f64_e32 v[8:9], v[14:15], v[12:13]
	v_cndmask_b32_e32 v1, 0, v1, vcc
	s_mov_b32 s0, 0x652b82fe
	v_ldexp_f64 v[8:9], v[8:9], v1
	v_cmp_class_f64_e32 vcc, v[10:11], v20
	s_mov_b32 s1, 0x3ff71547
	v_cndmask_b32_e32 v9, v9, v11, vcc
	v_cndmask_b32_e32 v8, v8, v10, vcc
	v_mul_f64 v[10:11], v[4:5], s[0:1]
	s_mov_b32 s0, 0xfefa39ef
	v_rndne_f64_e32 v[10:11], v[10:11]
	s_mov_b32 s1, 0xbfe62e42
	v_fma_f64 v[12:13], s[0:1], v[10:11], v[4:5]
	s_mov_b32 s0, 0x3b39803f
	s_mov_b32 s1, 0xbc7abc9e
	v_fmac_f64_e32 v[12:13], s[0:1], v[10:11]
	s_mov_b32 s0, 0x6a5dcb37
	v_mov_b32_e32 v14, 0xfca7ab0c
	v_mov_b32_e32 v15, 0x3e928af3
	s_mov_b32 s1, 0x3e5ade15
	v_fmac_f64_e32 v[14:15], s[0:1], v[12:13]
	v_mov_b32_e32 v16, 0x623fde64
	v_mov_b32_e32 v17, 0x3ec71dee
	v_fmac_f64_e32 v[16:17], v[12:13], v[14:15]
	v_mov_b32_e32 v14, 0x7c89e6b0
	v_mov_b32_e32 v15, 0x3efa0199
	;; [unrolled: 3-line block ×8, first 2 shown]
	s_mov_b32 s0, 0
	v_fmac_f64_e32 v[14:15], v[12:13], v[16:17]
	s_mov_b32 s1, 0x40900000
	v_fma_f64 v[14:15], v[12:13], v[14:15], 1.0
	v_cmp_nlt_f64_e32 vcc, s[0:1], v[4:5]
	s_mov_b32 s0, 0
	v_fma_f64 v[12:13], v[12:13], v[14:15], 1.0
	v_cvt_i32_f64_e32 v1, v[10:11]
	s_mov_b32 s1, 0xc090cc00
	v_ldexp_f64 v[10:11], v[12:13], v1
	v_mov_b32_e32 v1, 0x7ff00000
	v_cmp_ngt_f64_e64 s[0:1], s[0:1], v[4:5]
	v_cndmask_b32_e32 v1, v1, v11, vcc
	s_and_b64 vcc, s[0:1], vcc
	v_add_f64 v[8:9], v[8:9], v[8:9]
	v_cndmask_b32_e64 v5, 0, v1, s[0:1]
	v_cndmask_b32_e32 v4, 0, v10, vcc
	v_mul_f64 v[4:5], v[8:9], v[4:5]
	v_div_scale_f64 v[8:9], s[0:1], v[4:5], v[4:5], v[6:7]
	v_rcp_f64_e32 v[10:11], v[8:9]
	s_mov_b32 s0, 0xfd0a823a
	s_mov_b32 s1, 0x4020a402
	v_fma_f64 v[12:13], -v[8:9], v[10:11], 1.0
	v_fmac_f64_e32 v[10:11], v[10:11], v[12:13]
	v_fma_f64 v[12:13], -v[8:9], v[10:11], 1.0
	v_fmac_f64_e32 v[10:11], v[10:11], v[12:13]
	v_div_scale_f64 v[12:13], vcc, v[6:7], v[4:5], v[6:7]
	v_mul_f64 v[14:15], v[12:13], v[10:11]
	v_fma_f64 v[8:9], -v[8:9], v[14:15], v[12:13]
	s_nop 1
	v_div_fmas_f64 v[8:9], v[8:9], v[10:11], v[14:15]
	v_cmp_nlt_f64_e32 vcc, s[0:1], v[2:3]
	s_andn2_b64 s[0:1], s[12:13], exec
	s_and_b64 s[16:17], vcc, exec
	v_div_fixup_f64 v[4:5], v[8:9], v[4:5], v[6:7]
	s_or_b64 s[0:1], s[0:1], s[16:17]
.LBB7_287:
	s_or_b64 exec, exec, s[14:15]
	s_and_saveexec_b64 s[14:15], s[0:1]
	s_cbranch_execz .LBB7_291
; %bb.288:
	v_mov_b32_e32 v14, 0
	v_mul_f64 v[6:7], v[2:3], v[2:3]
	v_mov_b32_e32 v15, 0x3ff00000
	s_mov_b32 s18, 0
	v_mul_f64 v[8:9], v[2:3], v[6:7]
	s_mov_b64 s[16:17], 0
	s_mov_b32 s19, 0x3cb00000
	v_pk_mov_b32 v[12:13], v[14:15], v[14:15] op_sel:[0,1]
	v_pk_mov_b32 v[10:11], v[2:3], v[2:3] op_sel:[0,1]
	;; [unrolled: 1-line block ×3, first 2 shown]
.LBB7_289:                              ; =>This Inner Loop Header: Depth=1
	v_mul_f64 v[14:15], v[8:9], v[14:15]
	v_add_f64 v[16:17], v[12:13], 1.0
	v_mul_f64 v[2:3], v[8:9], v[2:3]
	v_div_scale_f64 v[18:19], s[0:1], v[16:17], v[16:17], v[14:15]
	v_add_f64 v[22:23], v[16:17], 1.0
	v_rcp_f64_e32 v[24:25], v[18:19]
	v_div_scale_f64 v[26:27], s[0:1], v[22:23], v[22:23], v[2:3]
	v_rcp_f64_e32 v[30:31], v[26:27]
	v_fma_f64 v[32:33], -v[18:19], v[24:25], 1.0
	v_fmac_f64_e32 v[24:25], v[24:25], v[32:33]
	v_fma_f64 v[34:35], -v[18:19], v[24:25], 1.0
	v_fma_f64 v[32:33], -v[26:27], v[30:31], 1.0
	v_fmac_f64_e32 v[30:31], v[30:31], v[32:33]
	v_div_scale_f64 v[20:21], vcc, v[14:15], v[16:17], v[14:15]
	v_fmac_f64_e32 v[24:25], v[24:25], v[34:35]
	v_fma_f64 v[32:33], -v[26:27], v[30:31], 1.0
	v_div_scale_f64 v[28:29], s[0:1], v[2:3], v[22:23], v[2:3]
	v_mul_f64 v[34:35], v[20:21], v[24:25]
	v_fmac_f64_e32 v[30:31], v[30:31], v[32:33]
	v_fma_f64 v[18:19], -v[18:19], v[34:35], v[20:21]
	v_mul_f64 v[20:21], v[28:29], v[30:31]
	v_div_fmas_f64 v[18:19], v[18:19], v[24:25], v[34:35]
	v_fma_f64 v[24:25], -v[26:27], v[20:21], v[28:29]
	s_mov_b64 vcc, s[0:1]
	v_div_fixup_f64 v[14:15], v[18:19], v[16:17], v[14:15]
	v_div_fmas_f64 v[16:17], v[24:25], v[30:31], v[20:21]
	v_div_fixup_f64 v[2:3], v[16:17], v[22:23], v[2:3]
	v_div_scale_f64 v[16:17], s[0:1], v[22:23], v[22:23], v[14:15]
	v_add_f64 v[12:13], v[22:23], 1.0
	v_rcp_f64_e32 v[20:21], v[16:17]
	v_div_scale_f64 v[24:25], s[0:1], v[12:13], v[12:13], v[2:3]
	v_rcp_f64_e32 v[28:29], v[24:25]
	v_fma_f64 v[30:31], -v[16:17], v[20:21], 1.0
	v_fmac_f64_e32 v[20:21], v[20:21], v[30:31]
	v_fma_f64 v[32:33], -v[16:17], v[20:21], 1.0
	v_fma_f64 v[30:31], -v[24:25], v[28:29], 1.0
	v_div_scale_f64 v[18:19], vcc, v[14:15], v[22:23], v[14:15]
	v_fmac_f64_e32 v[28:29], v[28:29], v[30:31]
	v_fmac_f64_e32 v[20:21], v[20:21], v[32:33]
	v_fma_f64 v[30:31], -v[24:25], v[28:29], 1.0
	v_mul_f64 v[32:33], v[18:19], v[20:21]
	v_div_scale_f64 v[26:27], s[0:1], v[2:3], v[12:13], v[2:3]
	v_fmac_f64_e32 v[28:29], v[28:29], v[30:31]
	v_fma_f64 v[16:17], -v[16:17], v[32:33], v[18:19]
	v_mul_f64 v[18:19], v[26:27], v[28:29]
	v_div_fmas_f64 v[16:17], v[16:17], v[20:21], v[32:33]
	v_fma_f64 v[20:21], -v[24:25], v[18:19], v[26:27]
	v_div_fixup_f64 v[14:15], v[16:17], v[22:23], v[14:15]
	s_mov_b64 vcc, s[0:1]
	v_div_fmas_f64 v[16:17], v[20:21], v[28:29], v[18:19]
	v_add_f64 v[6:7], v[6:7], v[14:15]
	v_div_fixup_f64 v[2:3], v[16:17], v[12:13], v[2:3]
	v_div_scale_f64 v[16:17], s[0:1], v[6:7], v[6:7], v[14:15]
	v_rcp_f64_e32 v[18:19], v[16:17]
	v_div_scale_f64 v[20:21], vcc, v[14:15], v[6:7], v[14:15]
	v_add_f64 v[10:11], v[10:11], v[2:3]
	v_fma_f64 v[22:23], -v[16:17], v[18:19], 1.0
	v_fmac_f64_e32 v[18:19], v[18:19], v[22:23]
	v_fma_f64 v[22:23], -v[16:17], v[18:19], 1.0
	v_fmac_f64_e32 v[18:19], v[18:19], v[22:23]
	v_mul_f64 v[22:23], v[20:21], v[18:19]
	v_fma_f64 v[16:17], -v[16:17], v[22:23], v[20:21]
	v_div_fmas_f64 v[16:17], v[16:17], v[18:19], v[22:23]
	v_div_fixup_f64 v[16:17], v[16:17], v[6:7], v[14:15]
	v_cmp_ngt_f64_e64 s[0:1], |v[16:17]|, s[18:19]
	s_or_b64 s[16:17], s[0:1], s[16:17]
	s_andn2_b64 exec, exec, s[16:17]
	s_cbranch_execnz .LBB7_289
; %bb.290:
	s_or_b64 exec, exec, s[16:17]
	s_mov_b32 s0, 0x42b70f8b
	s_mov_b32 s1, 0xbfd0907f
	v_mul_f64 v[2:3], v[10:11], s[0:1]
	s_mov_b32 s0, 0x962715b8
	s_mov_b32 s1, 0x3fd6b8c7
	v_fmac_f64_e32 v[2:3], s[0:1], v[6:7]
	v_cndmask_b32_e64 v5, v5, v3, s[12:13]
	v_cndmask_b32_e64 v4, v4, v2, s[12:13]
.LBB7_291:
	s_or_b64 exec, exec, s[14:15]
                                        ; implicit-def: $vgpr2_vgpr3
.LBB7_292:
	s_andn2_saveexec_b64 s[10:11], s[10:11]
	s_cbranch_execz .LBB7_302
; %bb.293:
	s_mov_b32 s0, 0
	s_brev_b32 s1, 9
	v_cmp_lt_f64_e32 vcc, s[0:1], v[2:3]
	v_cndmask_b32_e64 v1, 0, 1, vcc
	v_lshlrev_b32_e32 v1, 8, v1
	v_ldexp_f64 v[4:5], -v[2:3], v1
	v_rsq_f64_e32 v[6:7], v[4:5]
	v_mul_f64 v[8:9], v[2:3], -2.0
	v_mov_b32_e32 v1, 0xffffff80
	v_cndmask_b32_e32 v1, 0, v1, vcc
	v_mul_f64 v[2:3], v[4:5], v[6:7]
	v_mul_f64 v[6:7], v[6:7], 0.5
	v_fma_f64 v[10:11], -v[6:7], v[2:3], 0.5
	v_fmac_f64_e32 v[2:3], v[2:3], v[10:11]
	v_fma_f64 v[12:13], -v[2:3], v[2:3], v[4:5]
	v_fmac_f64_e32 v[6:7], v[6:7], v[10:11]
	v_fmac_f64_e32 v[2:3], v[12:13], v[6:7]
	v_fma_f64 v[10:11], -v[2:3], v[2:3], v[4:5]
	v_fmac_f64_e32 v[2:3], v[10:11], v[6:7]
	v_ldexp_f64 v[2:3], v[2:3], v1
	v_mov_b32_e32 v1, 0x260
	v_cmp_class_f64_e32 vcc, v[4:5], v1
	v_cndmask_b32_e32 v3, v3, v5, vcc
	v_cndmask_b32_e32 v2, v2, v4, vcc
	s_mov_b32 s12, 0
	v_mul_f64 v[4:5], v[8:9], v[2:3]
	s_mov_b32 s13, 0x40080000
	v_div_scale_f64 v[6:7], s[0:1], s[12:13], s[12:13], v[4:5]
	v_rcp_f64_e32 v[8:9], v[6:7]
	s_mov_b32 s15, 0x3fe921fb
	s_mov_b32 s14, 0x54442d18
	s_movk_i32 s0, 0xff80
	v_fma_f64 v[10:11], -v[6:7], v[8:9], 1.0
	v_fmac_f64_e32 v[8:9], v[8:9], v[10:11]
	v_fma_f64 v[10:11], -v[6:7], v[8:9], 1.0
	v_fmac_f64_e32 v[8:9], v[8:9], v[10:11]
	v_div_scale_f64 v[10:11], vcc, v[4:5], s[12:13], v[4:5]
	v_mul_f64 v[12:13], v[10:11], v[8:9]
	v_fma_f64 v[6:7], -v[6:7], v[12:13], v[10:11]
                                        ; implicit-def: $vgpr24
                                        ; implicit-def: $vgpr14_vgpr15
	s_nop 1
	v_div_fmas_f64 v[6:7], v[6:7], v[8:9], v[12:13]
	v_div_fixup_f64 v[10:11], v[6:7], s[12:13], v[4:5]
	s_mov_b32 s12, 0
	v_add_f64 v[4:5], v[10:11], s[14:15]
	s_mov_b32 s13, 0x41d00000
	v_cmp_nlt_f64_e64 s[12:13], |v[4:5]|, s[12:13]
                                        ; implicit-def: $vgpr12_vgpr13
	s_and_saveexec_b64 s[16:17], s[12:13]
	s_xor_b64 s[16:17], exec, s[16:17]
	s_cbranch_execz .LBB7_295
; %bb.294:
	s_mov_b32 s18, 0
	s_mov_b32 s19, 0x7b000000
	v_and_b32_e32 v1, 0x7fffffff, v5
	v_ldexp_f64 v[12:13], |v[4:5]|, s0
	v_cmp_ge_f64_e64 vcc, |v[4:5]|, s[18:19]
	v_trig_preop_f64 v[6:7], |v[4:5]|, 0
	v_cndmask_b32_e32 v13, v1, v13, vcc
	v_cndmask_b32_e32 v12, v4, v12, vcc
	v_trig_preop_f64 v[8:9], |v[4:5]|, 1
	v_mul_f64 v[16:17], v[6:7], v[12:13]
	v_mul_f64 v[14:15], v[8:9], v[12:13]
	v_fma_f64 v[6:7], v[6:7], v[12:13], -v[16:17]
	v_add_f64 v[18:19], v[14:15], v[6:7]
	v_add_f64 v[20:21], v[16:17], v[18:19]
	s_mov_b32 s0, 0
	v_ldexp_f64 v[22:23], v[20:21], -2
	s_mov_b32 s1, 0x7ff00000
	v_fract_f64_e32 v[24:25], v[22:23]
	v_cmp_neq_f64_e64 vcc, |v[22:23]|, s[0:1]
	v_cndmask_b32_e32 v23, 0, v25, vcc
	v_cndmask_b32_e32 v22, 0, v24, vcc
	v_add_f64 v[24:25], v[18:19], -v[14:15]
	v_add_f64 v[6:7], v[6:7], -v[24:25]
	;; [unrolled: 1-line block ×4, first 2 shown]
	v_fma_f64 v[8:9], v[8:9], v[12:13], -v[14:15]
	v_trig_preop_f64 v[14:15], |v[4:5]|, 2
	v_add_f64 v[6:7], v[6:7], v[24:25]
	v_mul_f64 v[24:25], v[14:15], v[12:13]
	v_add_f64 v[28:29], v[24:25], v[8:9]
	v_add_f64 v[30:31], v[28:29], v[6:7]
	v_add_f64 v[16:17], v[20:21], -v[16:17]
	v_add_f64 v[20:21], v[30:31], -v[28:29]
	v_add_f64 v[6:7], v[6:7], -v[20:21]
	v_add_f64 v[20:21], v[30:31], -v[20:21]
	v_add_f64 v[20:21], v[28:29], -v[20:21]
	v_add_f64 v[6:7], v[6:7], v[20:21]
	v_add_f64 v[20:21], v[28:29], -v[24:25]
	v_add_f64 v[8:9], v[8:9], -v[20:21]
	;; [unrolled: 1-line block ×4, first 2 shown]
	v_add_f64 v[8:9], v[8:9], v[20:21]
	v_add_f64 v[16:17], v[18:19], -v[16:17]
	v_add_f64 v[6:7], v[8:9], v[6:7]
	v_fma_f64 v[8:9], v[14:15], v[12:13], -v[24:25]
	v_add_f64 v[18:19], v[16:17], v[30:31]
	v_add_f64 v[6:7], v[8:9], v[6:7]
	v_ldexp_f64 v[8:9], v[22:23], 2
	v_add_f64 v[12:13], v[18:19], v[8:9]
	v_mov_b32_e32 v1, 0x40100000
	v_cmp_gt_f64_e32 vcc, 0, v[12:13]
	v_mov_b32_e32 v26, 0
	v_cndmask_b32_e32 v27, 0, v1, vcc
	v_add_f64 v[8:9], v[8:9], v[26:27]
	v_add_f64 v[12:13], v[18:19], v[8:9]
	v_cvt_i32_f64_e32 v1, v[12:13]
	v_cvt_f64_i32_e32 v[12:13], v1
	v_add_f64 v[8:9], v[8:9], -v[12:13]
	v_add_f64 v[12:13], v[18:19], v[8:9]
	v_add_f64 v[16:17], v[18:19], -v[16:17]
	v_cmp_le_f64_e32 vcc, 0.5, v[12:13]
	v_add_f64 v[16:17], v[30:31], -v[16:17]
	v_add_f64 v[8:9], v[12:13], -v[8:9]
	v_addc_co_u32_e64 v24, s[0:1], 0, v1, vcc
	v_mov_b32_e32 v1, 0x3ff00000
	v_add_f64 v[6:7], v[16:17], v[6:7]
	v_add_f64 v[8:9], v[18:19], -v[8:9]
	v_cndmask_b32_e32 v27, 0, v1, vcc
	v_add_f64 v[6:7], v[6:7], v[8:9]
	v_add_f64 v[8:9], v[12:13], -v[26:27]
	v_add_f64 v[12:13], v[8:9], v[6:7]
	v_add_f64 v[8:9], v[12:13], -v[8:9]
	s_mov_b32 s15, 0x3ff921fb
	v_add_f64 v[6:7], v[6:7], -v[8:9]
	v_mul_f64 v[8:9], v[12:13], s[14:15]
	s_mov_b32 s0, 0x33145c07
	v_fma_f64 v[14:15], v[12:13], s[14:15], -v[8:9]
	s_mov_b32 s1, 0x3c91a626
	v_fmac_f64_e32 v[14:15], s[0:1], v[12:13]
	v_fmac_f64_e32 v[14:15], s[14:15], v[6:7]
	v_add_f64 v[12:13], v[8:9], v[14:15]
	v_add_f64 v[6:7], v[12:13], -v[8:9]
	v_add_f64 v[14:15], v[14:15], -v[6:7]
	s_andn2_saveexec_b64 s[0:1], s[16:17]
	s_cbranch_execz .LBB7_297
	s_branch .LBB7_296
.LBB7_295:
	s_andn2_saveexec_b64 s[0:1], s[16:17]
	s_cbranch_execz .LBB7_297
.LBB7_296:
	s_mov_b32 s14, 0x6dc9c883
	s_mov_b32 s15, 0x3fe45f30
	v_mul_f64 v[6:7], |v[4:5]|, s[14:15]
	s_mov_b32 s14, 0x54442d18
	v_rndne_f64_e32 v[6:7], v[6:7]
	s_mov_b32 s15, 0xbff921fb
	v_fma_f64 v[8:9], v[6:7], s[14:15], |v[4:5]|
	s_mov_b32 s15, 0xbc91a626
	s_mov_b32 s14, 0x33145c00
	v_mul_f64 v[12:13], v[6:7], s[14:15]
	v_add_f64 v[18:19], v[8:9], v[12:13]
	v_fma_f64 v[14:15], s[14:15], v[6:7], v[8:9]
	s_mov_b32 s15, 0x3c91a626
	v_add_f64 v[8:9], v[8:9], -v[18:19]
	v_fma_f64 v[16:17], s[14:15], v[6:7], v[12:13]
	v_add_f64 v[8:9], v[8:9], v[12:13]
	v_add_f64 v[12:13], v[18:19], -v[14:15]
	v_add_f64 v[8:9], v[12:13], v[8:9]
	s_mov_b32 s14, 0x252049c0
	v_add_f64 v[8:9], v[8:9], -v[16:17]
	s_mov_b32 s15, 0xb97b839a
	v_fmac_f64_e32 v[8:9], s[14:15], v[6:7]
	v_add_f64 v[12:13], v[14:15], v[8:9]
	v_add_f64 v[14:15], v[12:13], -v[14:15]
	v_add_f64 v[14:15], v[8:9], -v[14:15]
	v_cvt_i32_f64_e32 v24, v[6:7]
.LBB7_297:
	s_or_b64 exec, exec, s[0:1]
                                        ; implicit-def: $vgpr1
                                        ; implicit-def: $vgpr6_vgpr7
                                        ; implicit-def: $vgpr8_vgpr9
	s_and_saveexec_b64 s[0:1], s[12:13]
	s_xor_b64 s[12:13], exec, s[0:1]
	s_cbranch_execz .LBB7_299
; %bb.298:
	s_mov_b32 s0, 0
	s_mov_b32 s1, 0x7b000000
	s_movk_i32 s14, 0xff80
	v_and_b32_e32 v1, 0x7fffffff, v5
	v_ldexp_f64 v[16:17], |v[4:5]|, s14
	v_cmp_ge_f64_e64 vcc, |v[4:5]|, s[0:1]
	v_trig_preop_f64 v[6:7], |v[4:5]|, 0
	v_cndmask_b32_e32 v17, v1, v17, vcc
	v_cndmask_b32_e32 v16, v4, v16, vcc
	v_trig_preop_f64 v[8:9], |v[4:5]|, 1
	v_mul_f64 v[20:21], v[6:7], v[16:17]
	v_mul_f64 v[18:19], v[8:9], v[16:17]
	v_fma_f64 v[6:7], v[6:7], v[16:17], -v[20:21]
	v_add_f64 v[22:23], v[18:19], v[6:7]
	v_add_f64 v[26:27], v[20:21], v[22:23]
	s_mov_b32 s0, 0
	v_ldexp_f64 v[28:29], v[26:27], -2
	s_mov_b32 s1, 0x7ff00000
	v_fract_f64_e32 v[30:31], v[28:29]
	v_cmp_neq_f64_e64 vcc, |v[28:29]|, s[0:1]
	v_cndmask_b32_e32 v29, 0, v31, vcc
	v_cndmask_b32_e32 v28, 0, v30, vcc
	v_add_f64 v[30:31], v[22:23], -v[18:19]
	v_add_f64 v[6:7], v[6:7], -v[30:31]
	;; [unrolled: 1-line block ×4, first 2 shown]
	v_fma_f64 v[8:9], v[8:9], v[16:17], -v[18:19]
	v_trig_preop_f64 v[18:19], |v[4:5]|, 2
	v_add_f64 v[6:7], v[6:7], v[30:31]
	v_mul_f64 v[30:31], v[18:19], v[16:17]
	v_add_f64 v[34:35], v[30:31], v[8:9]
	v_add_f64 v[36:37], v[34:35], v[6:7]
	v_add_f64 v[20:21], v[26:27], -v[20:21]
	v_add_f64 v[26:27], v[36:37], -v[34:35]
	;; [unrolled: 1-line block ×5, first 2 shown]
	v_add_f64 v[6:7], v[6:7], v[26:27]
	v_add_f64 v[26:27], v[34:35], -v[30:31]
	v_add_f64 v[8:9], v[8:9], -v[26:27]
	;; [unrolled: 1-line block ×4, first 2 shown]
	v_add_f64 v[8:9], v[8:9], v[26:27]
	v_add_f64 v[20:21], v[22:23], -v[20:21]
	v_add_f64 v[6:7], v[8:9], v[6:7]
	v_fma_f64 v[8:9], v[18:19], v[16:17], -v[30:31]
	v_add_f64 v[22:23], v[20:21], v[36:37]
	v_add_f64 v[6:7], v[8:9], v[6:7]
	v_ldexp_f64 v[8:9], v[28:29], 2
	v_add_f64 v[16:17], v[22:23], v[8:9]
	v_mov_b32_e32 v1, 0x40100000
	v_cmp_gt_f64_e32 vcc, 0, v[16:17]
	v_mov_b32_e32 v32, 0
	v_cndmask_b32_e32 v33, 0, v1, vcc
	v_add_f64 v[8:9], v[8:9], v[32:33]
	v_add_f64 v[16:17], v[22:23], v[8:9]
	v_cvt_i32_f64_e32 v1, v[16:17]
	v_cvt_f64_i32_e32 v[16:17], v1
	v_add_f64 v[8:9], v[8:9], -v[16:17]
	v_add_f64 v[20:21], v[22:23], -v[20:21]
	v_add_f64 v[16:17], v[22:23], v[8:9]
	v_add_f64 v[20:21], v[36:37], -v[20:21]
	v_add_f64 v[8:9], v[16:17], -v[8:9]
	v_add_f64 v[6:7], v[20:21], v[6:7]
	v_add_f64 v[8:9], v[22:23], -v[8:9]
	v_add_f64 v[6:7], v[6:7], v[8:9]
	v_cmp_le_f64_e32 vcc, 0.5, v[16:17]
	v_mov_b32_e32 v8, 0x3ff00000
	v_cndmask_b32_e32 v33, 0, v8, vcc
	v_addc_co_u32_e64 v1, s[0:1], 0, v1, vcc
	v_add_f64 v[8:9], v[16:17], -v[32:33]
	v_add_f64 v[16:17], v[8:9], v[6:7]
	s_mov_b32 s0, 0x54442d18
	v_add_f64 v[8:9], v[16:17], -v[8:9]
	s_mov_b32 s1, 0x3ff921fb
	v_add_f64 v[6:7], v[6:7], -v[8:9]
	v_mul_f64 v[8:9], v[16:17], s[0:1]
	s_mov_b32 s14, 0x33145c07
	v_fma_f64 v[18:19], v[16:17], s[0:1], -v[8:9]
	s_mov_b32 s15, 0x3c91a626
	v_fmac_f64_e32 v[18:19], s[14:15], v[16:17]
	v_fmac_f64_e32 v[18:19], s[0:1], v[6:7]
	v_add_f64 v[6:7], v[8:9], v[18:19]
	v_add_f64 v[8:9], v[6:7], -v[8:9]
	v_add_f64 v[8:9], v[18:19], -v[8:9]
	s_andn2_saveexec_b64 s[0:1], s[12:13]
	s_cbranch_execnz .LBB7_300
	s_branch .LBB7_301
.LBB7_299:
	s_andn2_saveexec_b64 s[0:1], s[12:13]
	s_cbranch_execz .LBB7_301
.LBB7_300:
	s_mov_b32 s12, 0x6dc9c883
	s_mov_b32 s13, 0x3fe45f30
	v_mul_f64 v[6:7], |v[4:5]|, s[12:13]
	s_mov_b32 s12, 0x54442d18
	v_rndne_f64_e32 v[16:17], v[6:7]
	s_mov_b32 s13, 0xbff921fb
	v_fma_f64 v[6:7], v[16:17], s[12:13], |v[4:5]|
	s_mov_b32 s13, 0xbc91a626
	s_mov_b32 s12, 0x33145c00
	v_mul_f64 v[18:19], v[16:17], s[12:13]
	v_add_f64 v[22:23], v[6:7], v[18:19]
	v_fma_f64 v[8:9], s[12:13], v[16:17], v[6:7]
	s_mov_b32 s13, 0x3c91a626
	v_add_f64 v[6:7], v[6:7], -v[22:23]
	v_fma_f64 v[20:21], s[12:13], v[16:17], v[18:19]
	v_add_f64 v[6:7], v[6:7], v[18:19]
	v_add_f64 v[18:19], v[22:23], -v[8:9]
	v_add_f64 v[6:7], v[18:19], v[6:7]
	s_mov_b32 s12, 0x252049c0
	v_add_f64 v[18:19], v[6:7], -v[20:21]
	s_mov_b32 s13, 0xb97b839a
	v_fmac_f64_e32 v[18:19], s[12:13], v[16:17]
	v_add_f64 v[6:7], v[8:9], v[18:19]
	v_add_f64 v[8:9], v[6:7], -v[8:9]
	v_add_f64 v[8:9], v[18:19], -v[8:9]
	v_cvt_i32_f64_e32 v1, v[16:17]
.LBB7_301:
	s_or_b64 exec, exec, s[0:1]
	v_div_scale_f64 v[16:17], s[0:1], v[10:11], v[10:11], 1.0
	v_rcp_f64_e32 v[18:19], v[16:17]
	v_div_scale_f64 v[20:21], vcc, 1.0, v[10:11], 1.0
	v_mov_b32_e32 v26, 0xaf76e73b
	v_fma_f64 v[22:23], -v[16:17], v[18:19], 1.0
	v_fmac_f64_e32 v[18:19], v[18:19], v[22:23]
	v_fma_f64 v[22:23], -v[16:17], v[18:19], 1.0
	v_fmac_f64_e32 v[18:19], v[18:19], v[22:23]
	v_mul_f64 v[22:23], v[20:21], v[18:19]
	v_fma_f64 v[16:17], -v[16:17], v[22:23], v[20:21]
	v_div_fmas_f64 v[16:17], v[16:17], v[18:19], v[22:23]
	v_div_fixup_f64 v[10:11], v[16:17], v[10:11], 1.0
	v_mul_f64 v[16:17], v[10:11], v[10:11]
	v_mov_b32_e32 v18, 0xd50ae6fb
	v_mov_b32_e32 v19, 0xbfc0db6c
	v_fmac_f64_e32 v[18:19], 0, v[16:17]
	v_mov_b32_e32 v20, 0x98566852
	v_mov_b32_e32 v21, 0xbfe40bee
	v_fmac_f64_e32 v[20:21], v[16:17], v[18:19]
	;; [unrolled: 3-line block ×15, first 2 shown]
	v_mov_b32_e32 v27, 0x3f13c8d7
	v_fmac_f64_e32 v[26:27], v[16:17], v[18:19]
	v_mov_b32_e32 v22, 0xb99518a7
	v_mov_b32_e32 v23, 0x3e9e52b9
	v_mul_f64 v[28:29], v[12:13], v[12:13]
	v_fmac_f64_e32 v[22:23], v[16:17], v[26:27]
	v_mov_b32_e32 v26, 0xf68ea2d2
	v_mov_b32_e32 v27, 0xbe52041c
	v_mul_f64 v[18:19], v[28:29], 0.5
	v_fmac_f64_e32 v[26:27], v[16:17], v[20:21]
	v_add_f64 v[20:21], -v[18:19], 1.0
	s_mov_b32 s0, 0x9037ab78
	v_add_f64 v[30:31], -v[20:21], 1.0
	s_mov_b32 s1, 0x3e21eeb6
	s_mov_b32 s12, 0x46cc5e42
	v_add_f64 v[30:31], v[30:31], -v[18:19]
	s_mov_b32 s13, 0xbda907db
	v_pk_mov_b32 v[18:19], s[0:1], s[0:1] op_sel:[0,1]
	s_mov_b32 s14, 0xa17f65f6
	v_fma_f64 v[34:35], s[12:13], v[28:29], v[18:19]
	s_mov_b32 s15, 0xbe927e4f
	s_mov_b32 s16, 0x19f4ec90
	v_fma_f64 v[34:35], v[28:29], v[34:35], s[14:15]
	s_mov_b32 s17, 0x3efa01a0
	;; [unrolled: 3-line block ×4, first 2 shown]
	v_mul_f64 v[32:33], v[28:29], v[28:29]
	v_fma_f64 v[34:35], v[28:29], v[34:35], s[20:21]
	v_fma_f64 v[30:31], v[12:13], -v[14:15], v[30:31]
	s_mov_b32 s0, 0xb42fdfa7
	v_fmac_f64_e32 v[30:31], v[32:33], v[34:35]
	s_mov_b32 s1, 0xbe5ae600
	s_mov_b32 s22, 0xf9a43bb8
	v_add_f64 v[30:31], v[20:21], v[30:31]
	s_mov_b32 s23, 0x3de5e0b2
	v_pk_mov_b32 v[20:21], s[0:1], s[0:1] op_sel:[0,1]
	s_mov_b32 s26, 0x796cde01
	v_fma_f64 v[32:33], s[22:23], v[28:29], v[20:21]
	s_mov_b32 s27, 0x3ec71de3
	s_mov_b32 s28, 0x19e83e5c
	v_fma_f64 v[32:33], v[28:29], v[32:33], s[26:27]
	s_mov_b32 s29, 0xbf2a01a0
	;; [unrolled: 3-line block ×3, first 2 shown]
	v_fma_f64 v[32:33], v[28:29], v[32:33], s[30:31]
	v_mul_f64 v[34:35], v[12:13], -v[28:29]
	v_mul_f64 v[36:37], v[14:15], 0.5
	v_fmac_f64_e32 v[36:37], v[34:35], v[32:33]
	v_fma_f64 v[14:15], v[28:29], v[36:37], -v[14:15]
	s_mov_b32 s37, 0xbfc55555
	s_mov_b32 s36, s20
	v_fmac_f64_e32 v[14:15], s[36:37], v[34:35]
	v_add_f64 v[12:13], v[12:13], -v[14:15]
	v_and_b32_e32 v14, 1, v24
	v_cmp_eq_u32_e32 vcc, 0, v14
	v_cndmask_b32_e32 v28, v30, v12, vcc
	v_cndmask_b32_e32 v12, v31, v13, vcc
	v_lshlrev_b32_e32 v13, 30, v24
	v_xor_b32_e32 v13, v13, v5
	v_and_b32_e32 v13, 0x80000000, v13
	v_xor_b32_e32 v29, v12, v13
	v_mul_f64 v[12:13], v[16:17], v[26:27]
	v_div_scale_f64 v[14:15], s[0:1], v[22:23], v[22:23], v[12:13]
	v_rcp_f64_e32 v[24:25], v[14:15]
	s_movk_i32 s38, 0x1f8
	v_cmp_class_f64_e64 s[0:1], v[4:5], s38
	v_mov_b32_e32 v32, 0x7ff80000
	v_fma_f64 v[26:27], -v[14:15], v[24:25], 1.0
	v_fmac_f64_e32 v[24:25], v[24:25], v[26:27]
	v_fma_f64 v[26:27], -v[14:15], v[24:25], 1.0
	v_fmac_f64_e32 v[24:25], v[24:25], v[26:27]
	v_div_scale_f64 v[26:27], vcc, v[12:13], v[22:23], v[12:13]
	v_cndmask_b32_e64 v4, 0, v28, s[0:1]
	v_cndmask_b32_e64 v5, v32, v29, s[0:1]
	v_mul_f64 v[28:29], v[26:27], v[24:25]
	v_fma_f64 v[14:15], -v[14:15], v[28:29], v[26:27]
	v_div_fmas_f64 v[14:15], v[14:15], v[24:25], v[28:29]
	v_div_fixup_f64 v[12:13], v[14:15], v[22:23], v[12:13]
	v_mov_b32_e32 v14, 0xddcfbbde
	v_mov_b32_e32 v15, 0x3f943525
	v_fmac_f64_e32 v[14:15], 0, v[16:17]
	v_mov_b32_e32 v22, 0x6437b7
	v_mov_b32_e32 v23, 0x3fd907d5
	v_fmac_f64_e32 v[22:23], v[16:17], v[14:15]
	;; [unrolled: 3-line block ×16, first 2 shown]
	v_mov_b32_e32 v24, 0xed64a9ee
	v_mov_b32_e32 v25, 0x3fb6221d
	s_mov_b32 s38, 0
	v_fmac_f64_e32 v[24:25], v[16:17], v[22:23]
	v_mov_b32_e32 v22, 0x6be393bb
	v_mov_b32_e32 v23, 0x3f70e704
	s_brev_b32 s39, 8
	v_fmac_f64_e32 v[22:23], v[16:17], v[24:25]
	v_mov_b32_e32 v24, 0xd603a5a0
	v_mov_b32_e32 v25, 0x3f1a8b61
	v_cmp_gt_f64_e32 vcc, s[38:39], v[2:3]
	v_fmac_f64_e32 v[24:25], v[16:17], v[22:23]
	v_cndmask_b32_e64 v22, 0, 1, vcc
	v_lshlrev_b32_e32 v22, 8, v22
	v_ldexp_f64 v[2:3], v[2:3], v22
	v_rsq_f64_e32 v[22:23], v[2:3]
	v_mov_b32_e32 v26, 0xdb0724e8
	v_mov_b32_e32 v27, 0x3eb3a845
	v_fmac_f64_e32 v[26:27], v[16:17], v[24:25]
	v_mul_f64 v[24:25], v[2:3], v[22:23]
	v_mul_f64 v[22:23], v[22:23], 0.5
	v_fma_f64 v[28:29], -v[22:23], v[24:25], 0.5
	v_fmac_f64_e32 v[24:25], v[24:25], v[28:29]
	v_fma_f64 v[30:31], -v[24:25], v[24:25], v[2:3]
	v_fmac_f64_e32 v[22:23], v[22:23], v[28:29]
	v_fmac_f64_e32 v[24:25], v[30:31], v[22:23]
	v_fma_f64 v[28:29], -v[24:25], v[24:25], v[2:3]
	v_fmac_f64_e32 v[24:25], v[28:29], v[22:23]
	v_mov_b32_e32 v22, 0xffffff80
	v_cndmask_b32_e32 v22, 0, v22, vcc
	v_ldexp_f64 v[22:23], v[24:25], v22
	v_mov_b32_e32 v24, 0x260
	v_cmp_class_f64_e32 vcc, v[2:3], v24
	s_mov_b32 s38, 0x50429b6d
	v_cndmask_b32_e32 v3, v23, v3, vcc
	v_cndmask_b32_e32 v2, v22, v2, vcc
	s_mov_b32 s39, 0x3fe20dd7
	v_div_scale_f64 v[22:23], s[40:41], v[2:3], v[2:3], s[38:39]
	v_rcp_f64_e32 v[24:25], v[22:23]
	v_mov_b32_e32 v28, 0x3dd589d4
	v_mov_b32_e32 v29, 0x3e351fc7
	v_fmac_f64_e32 v[28:29], v[16:17], v[26:27]
	v_fma_f64 v[16:17], -v[22:23], v[24:25], 1.0
	v_fmac_f64_e32 v[24:25], v[24:25], v[16:17]
	v_fma_f64 v[16:17], -v[22:23], v[24:25], 1.0
	v_fmac_f64_e32 v[24:25], v[24:25], v[16:17]
	v_div_scale_f64 v[16:17], vcc, s[38:39], v[2:3], s[38:39]
	v_mul_f64 v[26:27], v[16:17], v[24:25]
	v_fma_f64 v[16:17], -v[22:23], v[26:27], v[16:17]
	v_add_f64 v[12:13], v[12:13], 1.0
	s_nop 0
	v_div_fmas_f64 v[16:17], v[16:17], v[24:25], v[26:27]
	v_div_fixup_f64 v[2:3], v[16:17], v[2:3], s[38:39]
	v_mul_f64 v[16:17], v[6:7], v[6:7]
	v_mul_f64 v[22:23], v[16:17], 0.5
	v_fmac_f64_e32 v[18:19], s[12:13], v[16:17]
	v_add_f64 v[24:25], -v[22:23], 1.0
	v_fma_f64 v[18:19], v[16:17], v[18:19], s[14:15]
	v_add_f64 v[26:27], -v[24:25], 1.0
	v_fma_f64 v[18:19], v[16:17], v[18:19], s[16:17]
	v_add_f64 v[22:23], v[26:27], -v[22:23]
	v_fma_f64 v[18:19], v[16:17], v[18:19], s[18:19]
	v_fmac_f64_e32 v[20:21], s[22:23], v[16:17]
	v_mul_f64 v[26:27], v[16:17], v[16:17]
	v_fma_f64 v[18:19], v[16:17], v[18:19], s[20:21]
	v_fma_f64 v[22:23], v[6:7], -v[8:9], v[22:23]
	v_fma_f64 v[20:21], v[16:17], v[20:21], s[26:27]
	v_fmac_f64_e32 v[22:23], v[26:27], v[18:19]
	v_fma_f64 v[20:21], v[16:17], v[20:21], s[28:29]
	v_add_f64 v[18:19], v[24:25], v[22:23]
	v_fma_f64 v[20:21], v[16:17], v[20:21], s[30:31]
	v_mul_f64 v[22:23], v[6:7], -v[16:17]
	v_mul_f64 v[24:25], v[8:9], 0.5
	v_fmac_f64_e32 v[24:25], v[22:23], v[20:21]
	v_fma_f64 v[8:9], v[16:17], v[24:25], -v[8:9]
	v_fmac_f64_e32 v[8:9], s[36:37], v[22:23]
	v_add_f64 v[6:7], v[6:7], -v[8:9]
	v_and_b32_e32 v8, 1, v1
	v_xor_b32_e32 v7, 0x80000000, v7
	v_cmp_eq_u32_e32 vcc, 0, v8
	v_cndmask_b32_e32 v16, v6, v18, vcc
	v_cndmask_b32_e32 v17, v7, v19, vcc
	v_mul_f64 v[6:7], v[10:11], v[14:15]
	v_div_scale_f64 v[8:9], s[12:13], v[28:29], v[28:29], v[6:7]
	v_rcp_f64_e32 v[10:11], v[8:9]
	v_lshlrev_b32_e32 v1, 30, v1
	v_and_b32_e32 v1, 0x80000000, v1
	v_xor_b32_e32 v1, v17, v1
	v_cndmask_b32_e64 v14, 0, v16, s[0:1]
	v_fma_f64 v[16:17], -v[8:9], v[10:11], 1.0
	v_fmac_f64_e32 v[10:11], v[10:11], v[16:17]
	v_fma_f64 v[16:17], -v[8:9], v[10:11], 1.0
	v_fmac_f64_e32 v[10:11], v[10:11], v[16:17]
	v_div_scale_f64 v[16:17], vcc, v[6:7], v[28:29], v[6:7]
	v_mul_f64 v[18:19], v[16:17], v[10:11]
	v_fma_f64 v[8:9], -v[8:9], v[18:19], v[16:17]
	v_cndmask_b32_e64 v15, v32, v1, s[0:1]
	s_nop 0
	v_div_fmas_f64 v[8:9], v[8:9], v[10:11], v[18:19]
	v_div_fixup_f64 v[6:7], v[8:9], v[28:29], v[6:7]
	v_mul_f64 v[6:7], v[6:7], v[14:15]
	v_fma_f64 v[4:5], v[12:13], v[4:5], -v[6:7]
	v_mul_f64 v[4:5], v[2:3], v[4:5]
.LBB7_302:
	s_or_b64 exec, exec, s[10:11]
.LBB7_303:
	s_or_b64 exec, exec, s[8:9]
.LBB7_304:
	s_or_b64 exec, exec, s[2:3]
	global_store_dwordx2 v0, v[4:5], s[24:25]
	s_or_b64 exec, exec, s[48:49]
                                        ; implicit-def: $vgpr10
                                        ; implicit-def: $vgpr24
	s_andn2_saveexec_b64 s[0:1], s[34:35]
	s_cbranch_execz .LBB7_256
	s_branch .LBB7_9
	.section	.rodata,"a",@progbits
	.p2align	6, 0x0
	.amdhsa_kernel _ZN2at6native32elementwise_kernel_manual_unrollILi128ELi4EZNS0_22gpu_kernel_impl_nocastIZZZNS0_12_GLOBAL__N_119airy_ai_kernel_cudaERNS_18TensorIteratorBaseEENKUlvE_clEvENKUlvE_clEvEUldE_EEvS5_RKT_EUlibE_EEviT1_
		.amdhsa_group_segment_fixed_size 0
		.amdhsa_private_segment_fixed_size 0
		.amdhsa_kernarg_size 360
		.amdhsa_user_sgpr_count 6
		.amdhsa_user_sgpr_private_segment_buffer 1
		.amdhsa_user_sgpr_dispatch_ptr 0
		.amdhsa_user_sgpr_queue_ptr 0
		.amdhsa_user_sgpr_kernarg_segment_ptr 1
		.amdhsa_user_sgpr_dispatch_id 0
		.amdhsa_user_sgpr_flat_scratch_init 0
		.amdhsa_user_sgpr_kernarg_preload_length 0
		.amdhsa_user_sgpr_kernarg_preload_offset 0
		.amdhsa_user_sgpr_private_segment_size 0
		.amdhsa_uses_dynamic_stack 0
		.amdhsa_system_sgpr_private_segment_wavefront_offset 0
		.amdhsa_system_sgpr_workgroup_id_x 1
		.amdhsa_system_sgpr_workgroup_id_y 0
		.amdhsa_system_sgpr_workgroup_id_z 0
		.amdhsa_system_sgpr_workgroup_info 0
		.amdhsa_system_vgpr_workitem_id 0
		.amdhsa_next_free_vgpr 50
		.amdhsa_next_free_sgpr 66
		.amdhsa_accum_offset 52
		.amdhsa_reserve_vcc 1
		.amdhsa_reserve_flat_scratch 0
		.amdhsa_float_round_mode_32 0
		.amdhsa_float_round_mode_16_64 0
		.amdhsa_float_denorm_mode_32 3
		.amdhsa_float_denorm_mode_16_64 3
		.amdhsa_dx10_clamp 1
		.amdhsa_ieee_mode 1
		.amdhsa_fp16_overflow 0
		.amdhsa_tg_split 0
		.amdhsa_exception_fp_ieee_invalid_op 0
		.amdhsa_exception_fp_denorm_src 0
		.amdhsa_exception_fp_ieee_div_zero 0
		.amdhsa_exception_fp_ieee_overflow 0
		.amdhsa_exception_fp_ieee_underflow 0
		.amdhsa_exception_fp_ieee_inexact 0
		.amdhsa_exception_int_div_zero 0
	.end_amdhsa_kernel
	.section	.text._ZN2at6native32elementwise_kernel_manual_unrollILi128ELi4EZNS0_22gpu_kernel_impl_nocastIZZZNS0_12_GLOBAL__N_119airy_ai_kernel_cudaERNS_18TensorIteratorBaseEENKUlvE_clEvENKUlvE_clEvEUldE_EEvS5_RKT_EUlibE_EEviT1_,"axG",@progbits,_ZN2at6native32elementwise_kernel_manual_unrollILi128ELi4EZNS0_22gpu_kernel_impl_nocastIZZZNS0_12_GLOBAL__N_119airy_ai_kernel_cudaERNS_18TensorIteratorBaseEENKUlvE_clEvENKUlvE_clEvEUldE_EEvS5_RKT_EUlibE_EEviT1_,comdat
.Lfunc_end7:
	.size	_ZN2at6native32elementwise_kernel_manual_unrollILi128ELi4EZNS0_22gpu_kernel_impl_nocastIZZZNS0_12_GLOBAL__N_119airy_ai_kernel_cudaERNS_18TensorIteratorBaseEENKUlvE_clEvENKUlvE_clEvEUldE_EEvS5_RKT_EUlibE_EEviT1_, .Lfunc_end7-_ZN2at6native32elementwise_kernel_manual_unrollILi128ELi4EZNS0_22gpu_kernel_impl_nocastIZZZNS0_12_GLOBAL__N_119airy_ai_kernel_cudaERNS_18TensorIteratorBaseEENKUlvE_clEvENKUlvE_clEvEUldE_EEvS5_RKT_EUlibE_EEviT1_
                                        ; -- End function
	.section	.AMDGPU.csdata,"",@progbits
; Kernel info:
; codeLenInByte = 54104
; NumSgprs: 70
; NumVgprs: 50
; NumAgprs: 0
; TotalNumVgprs: 50
; ScratchSize: 0
; MemoryBound: 0
; FloatMode: 240
; IeeeMode: 1
; LDSByteSize: 0 bytes/workgroup (compile time only)
; SGPRBlocks: 8
; VGPRBlocks: 6
; NumSGPRsForWavesPerEU: 70
; NumVGPRsForWavesPerEU: 50
; AccumOffset: 52
; Occupancy: 8
; WaveLimiterHint : 1
; COMPUTE_PGM_RSRC2:SCRATCH_EN: 0
; COMPUTE_PGM_RSRC2:USER_SGPR: 6
; COMPUTE_PGM_RSRC2:TRAP_HANDLER: 0
; COMPUTE_PGM_RSRC2:TGID_X_EN: 1
; COMPUTE_PGM_RSRC2:TGID_Y_EN: 0
; COMPUTE_PGM_RSRC2:TGID_Z_EN: 0
; COMPUTE_PGM_RSRC2:TIDIG_COMP_CNT: 0
; COMPUTE_PGM_RSRC3_GFX90A:ACCUM_OFFSET: 12
; COMPUTE_PGM_RSRC3_GFX90A:TG_SPLIT: 0
	.text
	.p2align	2                               ; -- Begin function _ZN2at6native6invokeIZZZNS0_12_GLOBAL__N_119airy_ai_kernel_cudaERNS_18TensorIteratorBaseEENKUlvE_clEvENKUlvE_clEvEUldE_i15function_traitsIS7_EEENT1_11result_typeERKT_PrKPcPKT0_PKN3c1010ScalarTypeEi
	.type	_ZN2at6native6invokeIZZZNS0_12_GLOBAL__N_119airy_ai_kernel_cudaERNS_18TensorIteratorBaseEENKUlvE_clEvENKUlvE_clEvEUldE_i15function_traitsIS7_EEENT1_11result_typeERKT_PrKPcPKT0_PKN3c1010ScalarTypeEi,@function
_ZN2at6native6invokeIZZZNS0_12_GLOBAL__N_119airy_ai_kernel_cudaERNS_18TensorIteratorBaseEENKUlvE_clEvENKUlvE_clEvEUldE_i15function_traitsIS7_EEENT1_11result_typeERKT_PrKPcPKT0_PKN3c1010ScalarTypeEi: ; @_ZN2at6native6invokeIZZZNS0_12_GLOBAL__N_119airy_ai_kernel_cudaERNS_18TensorIteratorBaseEENKUlvE_clEvENKUlvE_clEvEUldE_i15function_traitsIS7_EEENT1_11result_typeERKT_PrKPcPKT0_PKN3c1010ScalarTypeEi
; %bb.0:
	s_waitcnt vmcnt(0) expcnt(0) lgkmcnt(0)
	s_xor_saveexec_b64 s[4:5], -1
	buffer_store_dword v36, off, s[0:3], s32 ; 4-byte Folded Spill
	s_mov_b64 exec, s[4:5]
	v_writelane_b32 v36, s34, 0
	v_writelane_b32 v36, s35, 1
	;; [unrolled: 1-line block ×6, first 2 shown]
	v_mul_lo_u32 v2, v4, v2
	v_ashrrev_i32_e32 v4, 31, v2
	v_add_co_u32_e32 v0, vcc, v0, v2
	v_mov_b32_e32 v2, 10
	v_addc_co_u32_e32 v1, vcc, v1, v4, vcc
	v_cmp_gt_i16_sdwa s[4:5], v3, v2 src0_sel:BYTE_0 src1_sel:DWORD
	s_mov_b64 s[8:9], 0
                                        ; implicit-def: $vgpr4_vgpr5
	s_and_saveexec_b64 s[6:7], s[4:5]
	s_xor_b64 s[4:5], exec, s[6:7]
	s_cbranch_execz .LBB8_40
; %bb.1:
	v_mov_b32_e32 v2, 25
	v_cmp_gt_i16_sdwa s[10:11], v3, v2 src0_sel:BYTE_0 src1_sel:DWORD
	s_mov_b64 s[6:7], 0
	s_mov_b64 s[12:13], 0
                                        ; implicit-def: $vgpr4_vgpr5
	s_and_saveexec_b64 s[14:15], s[10:11]
	s_xor_b64 s[10:11], exec, s[14:15]
	s_cbranch_execz .LBB8_95
; %bb.2:
	v_mov_b32_e32 v2, 28
	v_cmp_gt_i16_sdwa s[8:9], v3, v2 src0_sel:BYTE_0 src1_sel:DWORD
	s_mov_b64 s[14:15], 0
                                        ; implicit-def: $vgpr4_vgpr5
	s_and_saveexec_b64 s[16:17], s[8:9]
	s_xor_b64 s[8:9], exec, s[16:17]
	s_cbranch_execz .LBB8_18
; %bb.3:
	v_mov_b32_e32 v2, 43
	v_cmp_gt_i16_sdwa s[12:13], v3, v2 src0_sel:BYTE_0 src1_sel:DWORD
	s_mov_b64 s[16:17], 0
	s_mov_b64 s[18:19], 0
                                        ; implicit-def: $vgpr4_vgpr5
	s_and_saveexec_b64 s[14:15], s[12:13]
	s_xor_b64 s[12:13], exec, s[14:15]
	s_cbranch_execz .LBB8_13
; %bb.4:
	v_mov_b32_e32 v2, 45
	v_cmp_gt_i16_sdwa s[18:19], v3, v2 src0_sel:BYTE_0 src1_sel:DWORD
	s_mov_b64 s[14:15], 0
                                        ; implicit-def: $vgpr4_vgpr5
	s_and_saveexec_b64 s[20:21], s[18:19]
	s_xor_b64 s[18:19], exec, s[20:21]
	s_cbranch_execz .LBB8_8
; %bb.5:
	v_mov_b32_e32 v2, 46
	v_cmp_eq_u16_sdwa s[22:23], v3, v2 src0_sel:BYTE_0 src1_sel:DWORD
	s_mov_b64 s[20:21], -1
                                        ; implicit-def: $vgpr4_vgpr5
	s_and_saveexec_b64 s[16:17], s[22:23]
	s_cbranch_execz .LBB8_7
; %bb.6:
	flat_load_dword v2, v[0:1]
	s_mov_b64 s[14:15], exec
	s_xor_b64 s[20:21], exec, -1
	s_waitcnt vmcnt(0) lgkmcnt(0)
	v_lshlrev_b32_e32 v2, 16, v2
	v_cvt_f64_f32_e32 v[4:5], v2
.LBB8_7:
	s_or_b64 exec, exec, s[16:17]
	s_and_b64 s[16:17], s[14:15], exec
	s_and_b64 s[14:15], s[20:21], exec
                                        ; implicit-def: $vgpr3
.LBB8_8:
	s_andn2_saveexec_b64 s[18:19], s[18:19]
	s_cbranch_execz .LBB8_12
; %bb.9:
	v_mov_b32_e32 v2, 44
	v_cmp_eq_u16_sdwa s[26:27], v3, v2 src0_sel:BYTE_0 src1_sel:DWORD
	s_mov_b64 s[24:25], -1
	s_mov_b64 s[22:23], s[16:17]
                                        ; implicit-def: $vgpr4_vgpr5
	s_and_saveexec_b64 s[20:21], s[26:27]
	s_cbranch_execz .LBB8_11
; %bb.10:
	flat_load_ubyte v4, v[0:1]
	s_movk_i32 s24, 0xff
	v_bfrev_b32_e32 v5, 4
	v_mov_b32_e32 v6, 0x7ff80000
	v_bfrev_b32_e32 v7, 28
	s_or_b64 s[22:23], s[16:17], exec
	s_waitcnt vmcnt(0) lgkmcnt(0)
	v_lshlrev_b32_e32 v2, 23, v4
	v_cvt_f64_f32_e32 v[2:3], v2
	v_cmp_ne_u32_e32 vcc, s24, v4
	v_cndmask_b32_e32 v2, v5, v2, vcc
	v_cndmask_b32_e32 v3, v6, v3, vcc
	v_cmp_ne_u32_e32 vcc, 0, v4
	v_cndmask_b32_e32 v5, v7, v3, vcc
	v_cndmask_b32_e32 v4, 0, v2, vcc
	s_xor_b64 s[24:25], exec, -1
.LBB8_11:
	s_or_b64 exec, exec, s[20:21]
	s_andn2_b64 s[16:17], s[16:17], exec
	s_and_b64 s[20:21], s[22:23], exec
	s_or_b64 s[16:17], s[16:17], s[20:21]
	s_andn2_b64 s[14:15], s[14:15], exec
	s_and_b64 s[20:21], s[24:25], exec
	s_or_b64 s[14:15], s[14:15], s[20:21]
.LBB8_12:
	s_or_b64 exec, exec, s[18:19]
	s_and_b64 s[18:19], s[16:17], exec
	s_and_b64 s[16:17], s[14:15], exec
                                        ; implicit-def: $vgpr3
.LBB8_13:
	s_andn2_saveexec_b64 s[12:13], s[12:13]
	s_cbranch_execz .LBB8_17
; %bb.14:
	v_mov_b32_e32 v2, 29
	v_cmp_eq_u16_sdwa s[24:25], v3, v2 src0_sel:BYTE_0 src1_sel:DWORD
	s_mov_b64 s[14:15], -1
	s_mov_b64 s[20:21], s[18:19]
                                        ; implicit-def: $vgpr4_vgpr5
	s_and_saveexec_b64 s[22:23], s[24:25]
	s_cbranch_execz .LBB8_16
; %bb.15:
	flat_load_dwordx2 v[2:3], v[0:1]
	s_or_b64 s[20:21], s[18:19], exec
	s_xor_b64 s[14:15], exec, -1
	s_waitcnt vmcnt(0) lgkmcnt(0)
	v_cvt_f64_u32_e32 v[4:5], v3
	v_cvt_f64_u32_e32 v[2:3], v2
	v_ldexp_f64 v[4:5], v[4:5], 32
	v_add_f64 v[4:5], v[4:5], v[2:3]
.LBB8_16:
	s_or_b64 exec, exec, s[22:23]
	s_andn2_b64 s[18:19], s[18:19], exec
	s_and_b64 s[20:21], s[20:21], exec
	s_andn2_b64 s[16:17], s[16:17], exec
	s_and_b64 s[14:15], s[14:15], exec
	s_or_b64 s[18:19], s[18:19], s[20:21]
	s_or_b64 s[16:17], s[16:17], s[14:15]
.LBB8_17:
	s_or_b64 exec, exec, s[12:13]
	s_and_b64 s[14:15], s[18:19], exec
	s_and_b64 s[12:13], s[16:17], exec
                                        ; implicit-def: $vgpr3
.LBB8_18:
	s_andn2_saveexec_b64 s[8:9], s[8:9]
	s_cbranch_execz .LBB8_34
; %bb.19:
	v_mov_b32_e32 v2, 26
	v_cmp_gt_i16_sdwa s[16:17], v3, v2 src0_sel:BYTE_0 src1_sel:DWORD
                                        ; implicit-def: $vgpr4_vgpr5
	s_and_saveexec_b64 s[18:19], s[16:17]
	s_xor_b64 s[16:17], exec, s[18:19]
	s_cbranch_execz .LBB8_25
; %bb.20:
	v_mov_b32_e32 v2, 27
	v_cmp_gt_i16_sdwa s[18:19], v3, v2 src0_sel:BYTE_0 src1_sel:DWORD
                                        ; implicit-def: $vgpr4_vgpr5
	s_and_saveexec_b64 s[20:21], s[18:19]
	s_xor_b64 s[18:19], exec, s[20:21]
	s_cbranch_execz .LBB8_22
; %bb.21:
	flat_load_dword v2, v[0:1]
	s_waitcnt vmcnt(0) lgkmcnt(0)
	v_cvt_f64_u32_e32 v[4:5], v2
.LBB8_22:
	s_andn2_saveexec_b64 s[18:19], s[18:19]
	s_cbranch_execz .LBB8_24
; %bb.23:
	flat_load_ushort v2, v[0:1]
	s_waitcnt vmcnt(0) lgkmcnt(0)
	v_cvt_f64_u32_e32 v[4:5], v2
.LBB8_24:
	s_or_b64 exec, exec, s[18:19]
.LBB8_25:
	s_andn2_saveexec_b64 s[16:17], s[16:17]
	s_cbranch_execz .LBB8_33
; %bb.26:
	flat_load_ubyte v2, v[0:1]
	s_movk_i32 s18, 0x7f
                                        ; implicit-def: $sgpr20_sgpr21
	s_waitcnt vmcnt(0) lgkmcnt(0)
	v_cmp_lt_i16_e32 vcc, s18, v2
	s_mov_b64 s[18:19], 0
	s_and_saveexec_b64 s[22:23], vcc
	s_xor_b64 s[22:23], exec, s[22:23]
	s_cbranch_execz .LBB8_122
; %bb.27:
	s_movk_i32 s18, 0x80
	v_cmp_eq_u16_e32 vcc, s18, v2
	s_mov_b64 s[24:25], -1
                                        ; implicit-def: $sgpr20_sgpr21
	s_and_saveexec_b64 s[18:19], vcc
; %bb.28:
	s_mov_b32 s21, 0x7ff80000
	s_brev_b32 s20, 4
	s_xor_b64 s[24:25], exec, -1
; %bb.29:
	s_or_b64 exec, exec, s[18:19]
	s_and_b64 s[18:19], s[24:25], exec
	s_or_saveexec_b64 s[22:23], s[22:23]
	v_pk_mov_b32 v[4:5], s[20:21], s[20:21] op_sel:[0,1]
	s_xor_b64 exec, exec, s[22:23]
	s_cbranch_execnz .LBB8_123
.LBB8_30:
	s_or_b64 exec, exec, s[22:23]
	s_and_saveexec_b64 s[20:21], s[18:19]
	s_cbranch_execz .LBB8_32
.LBB8_31:
	v_lshlrev_b32_e32 v3, 24, v2
	v_and_b32_e32 v2, 0xffff, v2
	v_and_b32_e32 v4, 7, v2
	v_ffbh_u32_e32 v6, v4
	v_min_u32_e32 v6, 32, v6
	v_subrev_u32_e32 v7, 28, v6
	v_bfe_u32 v5, v2, 3, 4
	v_lshlrev_b32_e32 v2, v7, v2
	v_sub_u32_e32 v6, 29, v6
	v_and_b32_e32 v2, 7, v2
	v_cmp_eq_u32_e32 vcc, 0, v5
	v_cndmask_b32_e32 v5, v5, v6, vcc
	v_cndmask_b32_e32 v2, v4, v2, vcc
	v_mov_b32_e32 v4, 0x3b800000
	v_lshlrev_b32_e32 v2, 20, v2
	v_and_b32_e32 v3, 0x80000000, v3
	v_lshl_add_u32 v4, v5, 23, v4
	v_or3_b32 v2, v3, v4, v2
	v_cvt_f64_f32_e32 v[4:5], v2
.LBB8_32:
	s_or_b64 exec, exec, s[20:21]
.LBB8_33:
	s_or_b64 exec, exec, s[16:17]
	s_or_b64 s[14:15], s[14:15], exec
.LBB8_34:
	s_or_b64 exec, exec, s[8:9]
	s_and_b64 s[8:9], s[14:15], exec
	s_and_b64 s[12:13], s[12:13], exec
                                        ; implicit-def: $vgpr3
	s_andn2_saveexec_b64 s[10:11], s[10:11]
	s_cbranch_execnz .LBB8_96
.LBB8_35:
	s_or_b64 exec, exec, s[10:11]
	s_and_saveexec_b64 s[10:11], s[12:13]
	s_cbranch_execnz .LBB8_121
.LBB8_36:
	s_or_b64 exec, exec, s[10:11]
	s_and_saveexec_b64 s[10:11], s[6:7]
	s_xor_b64 s[6:7], exec, s[10:11]
	s_cbranch_execz .LBB8_38
.LBB8_37:
	flat_load_ubyte v0, v[0:1]
	v_mov_b32_e32 v1, 0x3ff00000
	v_mov_b32_e32 v4, 0
	s_or_b64 s[8:9], s[8:9], exec
	s_waitcnt vmcnt(0) lgkmcnt(0)
	v_cmp_ne_u16_e32 vcc, 0, v0
	v_cndmask_b32_e32 v5, 0, v1, vcc
.LBB8_38:
	s_or_b64 exec, exec, s[6:7]
	s_and_b64 s[8:9], s[8:9], exec
                                        ; implicit-def: $vgpr3
                                        ; implicit-def: $vgpr0_vgpr1
	s_andn2_saveexec_b64 s[4:5], s[4:5]
	s_cbranch_execnz .LBB8_41
.LBB8_39:
	s_or_b64 exec, exec, s[4:5]
                                        ; implicit-def: $vgpr0_vgpr1
	s_and_saveexec_b64 s[6:7], s[8:9]
	s_cbranch_execnz .LBB8_82
	s_branch .LBB8_134
.LBB8_40:
	s_andn2_saveexec_b64 s[4:5], s[4:5]
	s_cbranch_execz .LBB8_39
.LBB8_41:
	v_mov_b32_e32 v2, 4
	v_cmp_gt_i16_sdwa s[6:7], v3, v2 src0_sel:BYTE_0 src1_sel:DWORD
                                        ; implicit-def: $vgpr4_vgpr5
	s_and_saveexec_b64 s[10:11], s[6:7]
	s_xor_b64 s[6:7], exec, s[10:11]
	s_cbranch_execz .LBB8_63
; %bb.42:
	v_mov_b32_e32 v2, 7
	v_cmp_gt_i16_sdwa s[10:11], v3, v2 src0_sel:BYTE_0 src1_sel:DWORD
                                        ; implicit-def: $vgpr4_vgpr5
	s_and_saveexec_b64 s[12:13], s[10:11]
	s_xor_b64 s[10:11], exec, s[12:13]
	s_cbranch_execz .LBB8_52
; %bb.43:
	;; [unrolled: 7-line block ×4, first 2 shown]
	flat_load_dwordx2 v[4:5], v[0:1]
                                        ; implicit-def: $vgpr0_vgpr1
.LBB8_46:
	s_andn2_saveexec_b64 s[14:15], s[14:15]
	s_cbranch_execz .LBB8_48
; %bb.47:
	flat_load_dword v0, v[0:1]
	s_waitcnt vmcnt(0) lgkmcnt(0)
	v_cvt_f64_f32_e32 v[4:5], v0
.LBB8_48:
	s_or_b64 exec, exec, s[14:15]
                                        ; implicit-def: $vgpr0_vgpr1
.LBB8_49:
	s_andn2_saveexec_b64 s[12:13], s[12:13]
	s_cbranch_execz .LBB8_51
; %bb.50:
	flat_load_dword v0, v[0:1]
	s_waitcnt vmcnt(0) lgkmcnt(0)
	v_cvt_f32_f16_e32 v0, v0
	v_cvt_f64_f32_e32 v[4:5], v0
.LBB8_51:
	s_or_b64 exec, exec, s[12:13]
                                        ; implicit-def: $vgpr0_vgpr1
                                        ; implicit-def: $vgpr3
.LBB8_52:
	s_andn2_saveexec_b64 s[10:11], s[10:11]
	s_cbranch_execz .LBB8_62
; %bb.53:
	v_mov_b32_e32 v2, 5
	v_cmp_gt_i16_sdwa s[12:13], v3, v2 src0_sel:BYTE_0 src1_sel:DWORD
                                        ; implicit-def: $vgpr4_vgpr5
	s_and_saveexec_b64 s[14:15], s[12:13]
	s_xor_b64 s[12:13], exec, s[14:15]
	s_cbranch_execz .LBB8_59
; %bb.54:
	v_mov_b32_e32 v2, 6
	v_cmp_gt_i16_sdwa s[14:15], v3, v2 src0_sel:BYTE_0 src1_sel:DWORD
                                        ; implicit-def: $vgpr4_vgpr5
	s_and_saveexec_b64 s[16:17], s[14:15]
	s_xor_b64 s[14:15], exec, s[16:17]
	s_cbranch_execz .LBB8_56
; %bb.55:
	s_waitcnt vmcnt(0) lgkmcnt(0)
	flat_load_dwordx2 v[4:5], v[0:1]
                                        ; implicit-def: $vgpr0_vgpr1
.LBB8_56:
	s_andn2_saveexec_b64 s[14:15], s[14:15]
	s_cbranch_execz .LBB8_58
; %bb.57:
	flat_load_dword v0, v[0:1]
	s_waitcnt vmcnt(0) lgkmcnt(0)
	v_cvt_f64_f32_e32 v[4:5], v0
.LBB8_58:
	s_or_b64 exec, exec, s[14:15]
                                        ; implicit-def: $vgpr0_vgpr1
.LBB8_59:
	s_andn2_saveexec_b64 s[12:13], s[12:13]
	s_cbranch_execz .LBB8_61
; %bb.60:
	flat_load_ushort v0, v[0:1]
	s_waitcnt vmcnt(0) lgkmcnt(0)
	v_cvt_f32_f16_e32 v0, v0
	v_cvt_f64_f32_e32 v[4:5], v0
.LBB8_61:
	s_or_b64 exec, exec, s[12:13]
.LBB8_62:
	s_or_b64 exec, exec, s[10:11]
                                        ; implicit-def: $vgpr3
                                        ; implicit-def: $vgpr0_vgpr1
.LBB8_63:
	s_andn2_saveexec_b64 s[6:7], s[6:7]
	s_cbranch_execz .LBB8_81
; %bb.64:
	v_mov_b32_e32 v2, 1
	v_cmp_gt_i16_sdwa s[10:11], v3, v2 src0_sel:BYTE_0 src1_sel:DWORD
                                        ; implicit-def: $vgpr4_vgpr5
	s_and_saveexec_b64 s[12:13], s[10:11]
	s_xor_b64 s[10:11], exec, s[12:13]
	s_cbranch_execz .LBB8_74
; %bb.65:
	v_mov_b32_e32 v2, 2
	v_cmp_gt_i16_sdwa s[12:13], v3, v2 src0_sel:BYTE_0 src1_sel:DWORD
                                        ; implicit-def: $vgpr4_vgpr5
	s_and_saveexec_b64 s[14:15], s[12:13]
	s_xor_b64 s[12:13], exec, s[14:15]
	;; [unrolled: 7-line block ×3, first 2 shown]
	s_cbranch_execz .LBB8_68
; %bb.67:
	flat_load_dwordx2 v[0:1], v[0:1]
	s_waitcnt vmcnt(0) lgkmcnt(0)
	v_cvt_f64_i32_e32 v[2:3], v1
	v_ldexp_f64 v[2:3], v[2:3], 32
	v_cvt_f64_u32_e32 v[0:1], v0
	v_add_f64 v[4:5], v[2:3], v[0:1]
                                        ; implicit-def: $vgpr0_vgpr1
.LBB8_68:
	s_andn2_saveexec_b64 s[14:15], s[14:15]
	s_cbranch_execz .LBB8_70
; %bb.69:
	flat_load_dword v0, v[0:1]
	s_waitcnt vmcnt(0) lgkmcnt(0)
	v_cvt_f64_i32_e32 v[4:5], v0
.LBB8_70:
	s_or_b64 exec, exec, s[14:15]
                                        ; implicit-def: $vgpr0_vgpr1
.LBB8_71:
	s_andn2_saveexec_b64 s[12:13], s[12:13]
	s_cbranch_execz .LBB8_73
; %bb.72:
	flat_load_sshort v0, v[0:1]
	s_waitcnt vmcnt(0) lgkmcnt(0)
	v_cvt_f64_i32_e32 v[4:5], v0
.LBB8_73:
	s_or_b64 exec, exec, s[12:13]
                                        ; implicit-def: $vgpr0_vgpr1
                                        ; implicit-def: $vgpr3
.LBB8_74:
	s_andn2_saveexec_b64 s[10:11], s[10:11]
	s_cbranch_execz .LBB8_80
; %bb.75:
	v_mov_b32_e32 v2, 0
	v_cmp_gt_i16_sdwa s[12:13], v3, v2 src0_sel:BYTE_0 src1_sel:DWORD
                                        ; implicit-def: $vgpr4_vgpr5
	s_and_saveexec_b64 s[14:15], s[12:13]
	s_xor_b64 s[12:13], exec, s[14:15]
	s_cbranch_execz .LBB8_77
; %bb.76:
	flat_load_sbyte v0, v[0:1]
	s_waitcnt vmcnt(0) lgkmcnt(0)
	v_cvt_f64_i32_e32 v[4:5], v0
                                        ; implicit-def: $vgpr0_vgpr1
.LBB8_77:
	s_andn2_saveexec_b64 s[12:13], s[12:13]
	s_cbranch_execz .LBB8_79
; %bb.78:
	flat_load_ubyte v0, v[0:1]
	s_waitcnt vmcnt(0) lgkmcnt(0)
	v_cvt_f64_u32_e32 v[4:5], v0
.LBB8_79:
	s_or_b64 exec, exec, s[12:13]
.LBB8_80:
	s_or_b64 exec, exec, s[10:11]
.LBB8_81:
	s_or_b64 exec, exec, s[6:7]
	s_or_b64 s[8:9], s[8:9], exec
	s_or_b64 exec, exec, s[4:5]
                                        ; implicit-def: $vgpr0_vgpr1
	s_and_saveexec_b64 s[6:7], s[8:9]
	s_cbranch_execz .LBB8_134
.LBB8_82:
	s_mov_b32 s4, 0
	s_mov_b32 s5, 0x7ff00000
	v_mov_b32_e32 v0, 0
	s_waitcnt vmcnt(0) lgkmcnt(0)
	v_cmp_neq_f64_e64 s[4:5], |v[4:5]|, s[4:5]
	v_mov_b32_e32 v1, 0x7ff80000
	s_and_saveexec_b64 s[8:9], s[4:5]
	s_cbranch_execz .LBB8_133
; %bb.83:
	s_mov_b32 s4, 0x872b020c
	s_mov_b32 s5, 0x4059f916
	v_cmp_nlt_f64_e32 vcc, s[4:5], v[4:5]
	v_pk_mov_b32 v[0:1], 0, 0
	s_and_saveexec_b64 s[10:11], vcc
	s_cbranch_execz .LBB8_132
; %bb.84:
	s_mov_b32 s5, 0xc000b851
	s_mov_b32 s4, 0xeb851eb8
	v_cmp_ngt_f64_e32 vcc, s[4:5], v[4:5]
                                        ; implicit-def: $vgpr0_vgpr1
	s_and_saveexec_b64 s[12:13], vcc
	s_xor_b64 s[12:13], exec, s[12:13]
	s_cbranch_execz .LBB8_92
; %bb.85:
	s_mov_b32 s5, 0x4000b851
	v_cmp_nle_f64_e64 s[14:15], s[4:5], v[4:5]
	v_cmp_le_f64_e32 vcc, s[4:5], v[4:5]
	v_pk_mov_b32 v[0:1], 0, 0
	s_mov_b64 s[4:5], s[14:15]
	s_and_saveexec_b64 s[16:17], vcc
	s_cbranch_execz .LBB8_87
; %bb.86:
	s_mov_b32 s4, 0
	s_brev_b32 s5, 8
	v_cmp_gt_f64_e32 vcc, s[4:5], v[4:5]
	v_cndmask_b32_e64 v0, 0, 1, vcc
	v_lshlrev_b32_e32 v0, 8, v0
	v_ldexp_f64 v[0:1], v[4:5], v0
	v_rsq_f64_e32 v[2:3], v[0:1]
	v_add_f64 v[6:7], v[4:5], v[4:5]
	s_mov_b32 s18, 0
	s_mov_b32 s19, 0x40080000
	v_mul_f64 v[10:11], v[0:1], v[2:3]
	v_mul_f64 v[2:3], v[2:3], 0.5
	v_fma_f64 v[8:9], -v[2:3], v[10:11], 0.5
	v_fmac_f64_e32 v[10:11], v[10:11], v[8:9]
	v_fma_f64 v[12:13], -v[10:11], v[10:11], v[0:1]
	v_fmac_f64_e32 v[2:3], v[2:3], v[8:9]
	v_fmac_f64_e32 v[10:11], v[12:13], v[2:3]
	v_fma_f64 v[8:9], -v[10:11], v[10:11], v[0:1]
	v_fmac_f64_e32 v[10:11], v[8:9], v[2:3]
	v_mov_b32_e32 v8, 0xffffff80
	v_cndmask_b32_e32 v2, 0, v8, vcc
	v_mov_b32_e32 v9, 0x260
	v_ldexp_f64 v[2:3], v[10:11], v2
	v_cmp_class_f64_e32 vcc, v[0:1], v9
	v_cndmask_b32_e32 v3, v3, v1, vcc
	v_cndmask_b32_e32 v2, v2, v0, vcc
	v_mul_f64 v[0:1], v[6:7], v[2:3]
	v_div_scale_f64 v[6:7], s[20:21], s[18:19], s[18:19], v[0:1]
	v_rcp_f64_e32 v[10:11], v[6:7]
	v_fma_f64 v[12:13], -v[6:7], v[10:11], 1.0
	v_fmac_f64_e32 v[10:11], v[10:11], v[12:13]
	v_fma_f64 v[12:13], -v[6:7], v[10:11], 1.0
	v_fmac_f64_e32 v[10:11], v[10:11], v[12:13]
	v_div_scale_f64 v[12:13], vcc, v[0:1], s[18:19], v[0:1]
	v_mul_f64 v[14:15], v[12:13], v[10:11]
	v_fma_f64 v[6:7], -v[6:7], v[14:15], v[12:13]
	s_nop 1
	v_div_fmas_f64 v[6:7], v[6:7], v[10:11], v[14:15]
	v_div_fixup_f64 v[0:1], v[6:7], s[18:19], v[0:1]
	v_div_scale_f64 v[6:7], s[18:19], v[0:1], v[0:1], 1.0
	v_rcp_f64_e32 v[10:11], v[6:7]
	v_fma_f64 v[12:13], -v[6:7], v[10:11], 1.0
	v_fmac_f64_e32 v[10:11], v[10:11], v[12:13]
	v_fma_f64 v[12:13], -v[6:7], v[10:11], 1.0
	v_fmac_f64_e32 v[10:11], v[10:11], v[12:13]
	v_div_scale_f64 v[12:13], vcc, 1.0, v[0:1], 1.0
	v_mul_f64 v[14:15], v[12:13], v[10:11]
	v_fma_f64 v[6:7], -v[6:7], v[14:15], v[12:13]
	v_mov_b32_e32 v12, 0x871a9067
	s_nop 0
	v_div_fmas_f64 v[6:7], v[6:7], v[10:11], v[14:15]
	v_div_fixup_f64 v[6:7], v[6:7], v[0:1], 1.0
	v_mov_b32_e32 v10, 0x2537b658
	v_mov_b32_e32 v11, 0x3fd62dae
	v_fmac_f64_e32 v[10:11], 0, v[6:7]
	v_mov_b32_e32 v13, 0x402803e3
	v_fmac_f64_e32 v[12:13], v[6:7], v[10:11]
	v_mov_b32_e32 v10, 0xde2e1e3
	v_mov_b32_e32 v11, 0x405311e5
	v_fmac_f64_e32 v[10:11], v[6:7], v[12:13]
	v_mov_b32_e32 v12, 0xee40073c
	;; [unrolled: 3-line block ×12, first 2 shown]
	v_mov_b32_e32 v13, 0x402c311b
	v_fmac_f64_e32 v[12:13], v[6:7], v[14:15]
	v_fma_f64 v[12:13], v[6:7], v[12:13], 1.0
	v_fma_f64 v[6:7], v[6:7], v[10:11], 1.0
	v_div_scale_f64 v[10:11], s[18:19], v[12:13], v[12:13], v[6:7]
	v_rcp_f64_e32 v[14:15], v[10:11]
	v_fma_f64 v[16:17], -v[10:11], v[14:15], 1.0
	v_fmac_f64_e32 v[14:15], v[14:15], v[16:17]
	v_fma_f64 v[16:17], -v[10:11], v[14:15], 1.0
	v_fmac_f64_e32 v[14:15], v[14:15], v[16:17]
	v_div_scale_f64 v[16:17], vcc, v[6:7], v[12:13], v[6:7]
	v_mul_f64 v[18:19], v[16:17], v[14:15]
	v_fma_f64 v[10:11], -v[10:11], v[18:19], v[16:17]
	s_nop 1
	v_div_fmas_f64 v[10:11], v[10:11], v[14:15], v[18:19]
	v_cmp_gt_f64_e32 vcc, s[4:5], v[2:3]
	v_div_fixup_f64 v[6:7], v[10:11], v[12:13], v[6:7]
	v_cndmask_b32_e64 v10, 0, 1, vcc
	v_lshlrev_b32_e32 v10, 8, v10
	v_ldexp_f64 v[10:11], v[2:3], v10
	v_rsq_f64_e32 v[12:13], v[10:11]
	s_mov_b32 s4, 0x50429b6d
	s_mov_b32 s5, 0x3fe20dd7
	v_mul_f64 v[2:3], v[6:7], s[4:5]
	v_mul_f64 v[6:7], v[10:11], v[12:13]
	v_mul_f64 v[12:13], v[12:13], 0.5
	v_fma_f64 v[14:15], -v[12:13], v[6:7], 0.5
	v_fmac_f64_e32 v[6:7], v[6:7], v[14:15]
	v_fma_f64 v[16:17], -v[6:7], v[6:7], v[10:11]
	v_fmac_f64_e32 v[12:13], v[12:13], v[14:15]
	v_fmac_f64_e32 v[6:7], v[16:17], v[12:13]
	v_fma_f64 v[14:15], -v[6:7], v[6:7], v[10:11]
	s_mov_b32 s4, 0x652b82fe
	v_fmac_f64_e32 v[6:7], v[14:15], v[12:13]
	v_cndmask_b32_e32 v8, 0, v8, vcc
	s_mov_b32 s5, 0x3ff71547
	v_ldexp_f64 v[6:7], v[6:7], v8
	v_cmp_class_f64_e32 vcc, v[10:11], v9
	v_mul_f64 v[8:9], v[0:1], s[4:5]
	s_mov_b32 s4, 0xfefa39ef
	v_rndne_f64_e32 v[8:9], v[8:9]
	s_mov_b32 s5, 0xbfe62e42
	v_cndmask_b32_e32 v7, v7, v11, vcc
	v_cndmask_b32_e32 v6, v6, v10, vcc
	v_fma_f64 v[10:11], s[4:5], v[8:9], v[0:1]
	s_mov_b32 s4, 0x3b39803f
	s_mov_b32 s5, 0xbc7abc9e
	v_fmac_f64_e32 v[10:11], s[4:5], v[8:9]
	s_mov_b32 s4, 0x6a5dcb37
	v_mov_b32_e32 v12, 0xfca7ab0c
	v_mov_b32_e32 v13, 0x3e928af3
	s_mov_b32 s5, 0x3e5ade15
	v_fmac_f64_e32 v[12:13], s[4:5], v[10:11]
	v_mov_b32_e32 v14, 0x623fde64
	v_mov_b32_e32 v15, 0x3ec71dee
	v_fmac_f64_e32 v[14:15], v[10:11], v[12:13]
	v_mov_b32_e32 v12, 0x7c89e6b0
	v_mov_b32_e32 v13, 0x3efa0199
	;; [unrolled: 3-line block ×8, first 2 shown]
	s_mov_b32 s4, 0
	v_fmac_f64_e32 v[12:13], v[10:11], v[14:15]
	s_mov_b32 s5, 0x40900000
	v_fma_f64 v[12:13], v[10:11], v[12:13], 1.0
	v_cmp_nlt_f64_e32 vcc, s[4:5], v[0:1]
	s_mov_b32 s4, 0
	v_fma_f64 v[10:11], v[10:11], v[12:13], 1.0
	v_cvt_i32_f64_e32 v8, v[8:9]
	s_mov_b32 s5, 0xc090cc00
	v_ldexp_f64 v[8:9], v[10:11], v8
	v_mov_b32_e32 v10, 0x7ff00000
	v_cmp_ngt_f64_e64 s[4:5], s[4:5], v[0:1]
	v_cndmask_b32_e32 v9, v10, v9, vcc
	s_and_b64 vcc, s[4:5], vcc
	v_add_f64 v[6:7], v[6:7], v[6:7]
	v_cndmask_b32_e64 v1, 0, v9, s[4:5]
	v_cndmask_b32_e32 v0, 0, v8, vcc
	v_mul_f64 v[0:1], v[6:7], v[0:1]
	v_div_scale_f64 v[6:7], s[4:5], v[0:1], v[0:1], v[2:3]
	v_rcp_f64_e32 v[8:9], v[6:7]
	s_mov_b32 s4, 0xfd0a823a
	s_mov_b32 s5, 0x4020a402
	v_fma_f64 v[10:11], -v[6:7], v[8:9], 1.0
	v_fmac_f64_e32 v[8:9], v[8:9], v[10:11]
	v_fma_f64 v[10:11], -v[6:7], v[8:9], 1.0
	v_fmac_f64_e32 v[8:9], v[8:9], v[10:11]
	v_div_scale_f64 v[10:11], vcc, v[2:3], v[0:1], v[2:3]
	v_mul_f64 v[12:13], v[10:11], v[8:9]
	v_fma_f64 v[6:7], -v[6:7], v[12:13], v[10:11]
	s_nop 1
	v_div_fmas_f64 v[6:7], v[6:7], v[8:9], v[12:13]
	v_cmp_nlt_f64_e32 vcc, s[4:5], v[4:5]
	s_andn2_b64 s[4:5], s[14:15], exec
	s_and_b64 s[18:19], vcc, exec
	v_div_fixup_f64 v[0:1], v[6:7], v[0:1], v[2:3]
	s_or_b64 s[4:5], s[4:5], s[18:19]
.LBB8_87:
	s_or_b64 exec, exec, s[16:17]
	s_and_saveexec_b64 s[16:17], s[4:5]
	s_cbranch_execz .LBB8_91
; %bb.88:
	v_mov_b32_e32 v12, 0
	v_mul_f64 v[2:3], v[4:5], v[4:5]
	v_mov_b32_e32 v13, 0x3ff00000
	s_mov_b32 s20, 0
	v_mul_f64 v[6:7], v[4:5], v[2:3]
	s_mov_b64 s[18:19], 0
	s_mov_b32 s21, 0x3cb00000
	v_pk_mov_b32 v[10:11], v[12:13], v[12:13] op_sel:[0,1]
	v_pk_mov_b32 v[8:9], v[4:5], v[4:5] op_sel:[0,1]
	;; [unrolled: 1-line block ×3, first 2 shown]
.LBB8_89:                               ; =>This Inner Loop Header: Depth=1
	v_mul_f64 v[12:13], v[6:7], v[12:13]
	v_add_f64 v[14:15], v[10:11], 1.0
	v_mul_f64 v[16:17], v[6:7], v[4:5]
	v_div_scale_f64 v[18:19], s[4:5], v[14:15], v[14:15], v[12:13]
	v_add_f64 v[4:5], v[14:15], 1.0
	v_rcp_f64_e32 v[22:23], v[18:19]
	v_div_scale_f64 v[24:25], s[4:5], v[4:5], v[4:5], v[16:17]
	v_rcp_f64_e32 v[28:29], v[24:25]
	v_fma_f64 v[30:31], -v[18:19], v[22:23], 1.0
	v_fmac_f64_e32 v[22:23], v[22:23], v[30:31]
	v_fma_f64 v[32:33], -v[18:19], v[22:23], 1.0
	v_fma_f64 v[30:31], -v[24:25], v[28:29], 1.0
	v_fmac_f64_e32 v[28:29], v[28:29], v[30:31]
	v_div_scale_f64 v[20:21], vcc, v[12:13], v[14:15], v[12:13]
	v_fmac_f64_e32 v[22:23], v[22:23], v[32:33]
	v_fma_f64 v[30:31], -v[24:25], v[28:29], 1.0
	v_div_scale_f64 v[26:27], s[4:5], v[16:17], v[4:5], v[16:17]
	v_mul_f64 v[32:33], v[20:21], v[22:23]
	v_fmac_f64_e32 v[28:29], v[28:29], v[30:31]
	v_fma_f64 v[18:19], -v[18:19], v[32:33], v[20:21]
	v_mul_f64 v[20:21], v[26:27], v[28:29]
	v_div_fmas_f64 v[18:19], v[18:19], v[22:23], v[32:33]
	v_fma_f64 v[22:23], -v[24:25], v[20:21], v[26:27]
	s_mov_b64 vcc, s[4:5]
	v_div_fixup_f64 v[12:13], v[18:19], v[14:15], v[12:13]
	v_div_fmas_f64 v[14:15], v[22:23], v[28:29], v[20:21]
	v_div_fixup_f64 v[14:15], v[14:15], v[4:5], v[16:17]
	v_div_scale_f64 v[16:17], s[4:5], v[4:5], v[4:5], v[12:13]
	v_add_f64 v[10:11], v[4:5], 1.0
	v_rcp_f64_e32 v[20:21], v[16:17]
	v_div_scale_f64 v[22:23], s[4:5], v[10:11], v[10:11], v[14:15]
	v_rcp_f64_e32 v[26:27], v[22:23]
	v_fma_f64 v[28:29], -v[16:17], v[20:21], 1.0
	v_fmac_f64_e32 v[20:21], v[20:21], v[28:29]
	v_fma_f64 v[30:31], -v[16:17], v[20:21], 1.0
	v_fma_f64 v[28:29], -v[22:23], v[26:27], 1.0
	v_div_scale_f64 v[18:19], vcc, v[12:13], v[4:5], v[12:13]
	v_fmac_f64_e32 v[26:27], v[26:27], v[28:29]
	v_fmac_f64_e32 v[20:21], v[20:21], v[30:31]
	v_fma_f64 v[28:29], -v[22:23], v[26:27], 1.0
	v_mul_f64 v[30:31], v[18:19], v[20:21]
	v_div_scale_f64 v[24:25], s[4:5], v[14:15], v[10:11], v[14:15]
	v_fmac_f64_e32 v[26:27], v[26:27], v[28:29]
	v_fma_f64 v[16:17], -v[16:17], v[30:31], v[18:19]
	v_mul_f64 v[18:19], v[24:25], v[26:27]
	v_div_fmas_f64 v[16:17], v[16:17], v[20:21], v[30:31]
	v_fma_f64 v[20:21], -v[22:23], v[18:19], v[24:25]
	v_div_fixup_f64 v[12:13], v[16:17], v[4:5], v[12:13]
	s_mov_b64 vcc, s[4:5]
	v_div_fmas_f64 v[4:5], v[20:21], v[26:27], v[18:19]
	v_add_f64 v[2:3], v[2:3], v[12:13]
	v_div_fixup_f64 v[4:5], v[4:5], v[10:11], v[14:15]
	v_div_scale_f64 v[14:15], s[4:5], v[2:3], v[2:3], v[12:13]
	v_rcp_f64_e32 v[16:17], v[14:15]
	v_div_scale_f64 v[18:19], vcc, v[12:13], v[2:3], v[12:13]
	v_add_f64 v[8:9], v[8:9], v[4:5]
	v_fma_f64 v[20:21], -v[14:15], v[16:17], 1.0
	v_fmac_f64_e32 v[16:17], v[16:17], v[20:21]
	v_fma_f64 v[20:21], -v[14:15], v[16:17], 1.0
	v_fmac_f64_e32 v[16:17], v[16:17], v[20:21]
	v_mul_f64 v[20:21], v[18:19], v[16:17]
	v_fma_f64 v[14:15], -v[14:15], v[20:21], v[18:19]
	v_div_fmas_f64 v[14:15], v[14:15], v[16:17], v[20:21]
	v_div_fixup_f64 v[14:15], v[14:15], v[2:3], v[12:13]
	v_cmp_ngt_f64_e64 s[4:5], |v[14:15]|, s[20:21]
	s_or_b64 s[18:19], s[4:5], s[18:19]
	s_andn2_b64 exec, exec, s[18:19]
	s_cbranch_execnz .LBB8_89
; %bb.90:
	s_or_b64 exec, exec, s[18:19]
	s_mov_b32 s4, 0x42b70f8b
	s_mov_b32 s5, 0xbfd0907f
	v_mul_f64 v[4:5], v[8:9], s[4:5]
	s_mov_b32 s4, 0x962715b8
	s_mov_b32 s5, 0x3fd6b8c7
	v_fmac_f64_e32 v[4:5], s[4:5], v[2:3]
	v_cndmask_b32_e64 v1, v1, v5, s[14:15]
	v_cndmask_b32_e64 v0, v0, v4, s[14:15]
.LBB8_91:
	s_or_b64 exec, exec, s[16:17]
                                        ; implicit-def: $vgpr4_vgpr5
.LBB8_92:
	s_andn2_saveexec_b64 s[12:13], s[12:13]
	s_cbranch_execz .LBB8_131
; %bb.93:
	s_mov_b32 s4, 0
	s_brev_b32 s5, 9
	v_cmp_lt_f64_e32 vcc, s[4:5], v[4:5]
	v_cndmask_b32_e64 v0, 0, 1, vcc
	v_lshlrev_b32_e32 v0, 8, v0
	v_ldexp_f64 v[0:1], -v[4:5], v0
	v_rsq_f64_e32 v[2:3], v[0:1]
	v_mul_f64 v[4:5], v[4:5], -2.0
	s_mov_b32 s14, 0
	s_mov_b32 s15, 0x40080000
	v_mul_f64 v[6:7], v[0:1], v[2:3]
	v_mul_f64 v[2:3], v[2:3], 0.5
	v_fma_f64 v[8:9], -v[2:3], v[6:7], 0.5
	v_fmac_f64_e32 v[6:7], v[6:7], v[8:9]
	v_fma_f64 v[10:11], -v[6:7], v[6:7], v[0:1]
	v_fmac_f64_e32 v[2:3], v[2:3], v[8:9]
	v_fmac_f64_e32 v[6:7], v[10:11], v[2:3]
	v_fma_f64 v[8:9], -v[6:7], v[6:7], v[0:1]
	v_fmac_f64_e32 v[6:7], v[8:9], v[2:3]
	v_mov_b32_e32 v2, 0xffffff80
	v_cndmask_b32_e32 v2, 0, v2, vcc
	v_ldexp_f64 v[2:3], v[6:7], v2
	v_mov_b32_e32 v6, 0x260
	v_cmp_class_f64_e32 vcc, v[0:1], v6
	v_cndmask_b32_e32 v1, v3, v1, vcc
	v_cndmask_b32_e32 v0, v2, v0, vcc
	v_mul_f64 v[2:3], v[4:5], v[0:1]
	v_div_scale_f64 v[4:5], s[4:5], s[14:15], s[14:15], v[2:3]
	v_rcp_f64_e32 v[6:7], v[4:5]
	s_mov_b32 s17, 0x3fe921fb
	s_mov_b32 s16, 0x54442d18
	s_movk_i32 s4, 0xff80
	v_fma_f64 v[8:9], -v[4:5], v[6:7], 1.0
	v_fmac_f64_e32 v[6:7], v[6:7], v[8:9]
	v_fma_f64 v[8:9], -v[4:5], v[6:7], 1.0
	v_fmac_f64_e32 v[6:7], v[6:7], v[8:9]
	v_div_scale_f64 v[8:9], vcc, v[2:3], s[14:15], v[2:3]
	v_mul_f64 v[10:11], v[8:9], v[6:7]
	v_fma_f64 v[4:5], -v[4:5], v[10:11], v[8:9]
                                        ; implicit-def: $vgpr27
                                        ; implicit-def: $vgpr12_vgpr13
	s_nop 1
	v_div_fmas_f64 v[4:5], v[4:5], v[6:7], v[10:11]
	v_div_fixup_f64 v[8:9], v[4:5], s[14:15], v[2:3]
	s_mov_b32 s14, 0
	v_add_f64 v[2:3], v[8:9], s[16:17]
	s_mov_b32 s15, 0x41d00000
	v_cmp_nlt_f64_e64 s[14:15], |v[2:3]|, s[14:15]
	v_trig_preop_f64 v[18:19], |v[2:3]|, 0
	v_trig_preop_f64 v[16:17], |v[2:3]|, 1
	;; [unrolled: 1-line block ×3, first 2 shown]
                                        ; implicit-def: $vgpr10_vgpr11
	s_and_saveexec_b64 s[18:19], s[14:15]
	s_xor_b64 s[18:19], exec, s[18:19]
	s_cbranch_execz .LBB8_124
; %bb.94:
	s_mov_b32 s20, 0
	s_mov_b32 s21, 0x7b000000
	v_and_b32_e32 v6, 0x7fffffff, v3
	v_ldexp_f64 v[4:5], |v[2:3]|, s4
	v_cmp_ge_f64_e64 vcc, |v[2:3]|, s[20:21]
	v_cndmask_b32_e32 v5, v6, v5, vcc
	v_cndmask_b32_e32 v4, v2, v4, vcc
	v_mul_f64 v[10:11], v[18:19], v[4:5]
	v_mul_f64 v[6:7], v[16:17], v[4:5]
	v_fma_f64 v[12:13], v[18:19], v[4:5], -v[10:11]
	v_add_f64 v[20:21], v[6:7], v[12:13]
	v_add_f64 v[22:23], v[10:11], v[20:21]
	s_mov_b32 s4, 0
	v_ldexp_f64 v[24:25], v[22:23], -2
	s_mov_b32 s5, 0x7ff00000
	v_fract_f64_e32 v[26:27], v[24:25]
	v_cmp_neq_f64_e64 vcc, |v[24:25]|, s[4:5]
	v_cndmask_b32_e32 v25, 0, v27, vcc
	v_cndmask_b32_e32 v24, 0, v26, vcc
	v_add_f64 v[26:27], v[20:21], -v[6:7]
	v_add_f64 v[12:13], v[12:13], -v[26:27]
	;; [unrolled: 1-line block ×4, first 2 shown]
	v_add_f64 v[12:13], v[12:13], v[26:27]
	v_fma_f64 v[6:7], v[16:17], v[4:5], -v[6:7]
	v_mul_f64 v[26:27], v[14:15], v[4:5]
	v_add_f64 v[30:31], v[26:27], v[6:7]
	v_add_f64 v[32:33], v[30:31], v[12:13]
	v_add_f64 v[10:11], v[22:23], -v[10:11]
	v_add_f64 v[22:23], v[32:33], -v[30:31]
	;; [unrolled: 1-line block ×5, first 2 shown]
	v_add_f64 v[12:13], v[12:13], v[22:23]
	v_add_f64 v[22:23], v[30:31], -v[26:27]
	v_add_f64 v[6:7], v[6:7], -v[22:23]
	;; [unrolled: 1-line block ×5, first 2 shown]
	v_add_f64 v[20:21], v[10:11], v[32:33]
	v_add_f64 v[6:7], v[6:7], v[22:23]
	v_add_f64 v[10:11], v[20:21], -v[10:11]
	v_add_f64 v[6:7], v[6:7], v[12:13]
	v_fma_f64 v[4:5], v[14:15], v[4:5], -v[26:27]
	v_add_f64 v[10:11], v[32:33], -v[10:11]
	v_add_f64 v[4:5], v[4:5], v[6:7]
	v_ldexp_f64 v[6:7], v[24:25], 2
	v_add_f64 v[4:5], v[10:11], v[4:5]
	v_add_f64 v[10:11], v[20:21], v[6:7]
	v_mov_b32_e32 v12, 0x40100000
	v_cmp_gt_f64_e32 vcc, 0, v[10:11]
	v_mov_b32_e32 v28, 0
	v_cndmask_b32_e32 v29, 0, v12, vcc
	v_add_f64 v[6:7], v[6:7], v[28:29]
	v_add_f64 v[10:11], v[20:21], v[6:7]
	v_cvt_i32_f64_e32 v12, v[10:11]
	v_cvt_f64_i32_e32 v[10:11], v12
	v_add_f64 v[6:7], v[6:7], -v[10:11]
	v_add_f64 v[10:11], v[20:21], v[6:7]
	v_add_f64 v[6:7], v[10:11], -v[6:7]
	v_add_f64 v[6:7], v[20:21], -v[6:7]
	v_add_f64 v[4:5], v[4:5], v[6:7]
	v_cmp_le_f64_e32 vcc, 0.5, v[10:11]
	v_mov_b32_e32 v6, 0x3ff00000
	v_cndmask_b32_e32 v29, 0, v6, vcc
	v_add_f64 v[6:7], v[10:11], -v[28:29]
	v_add_f64 v[10:11], v[6:7], v[4:5]
	v_addc_co_u32_e64 v27, s[4:5], 0, v12, vcc
	v_add_f64 v[6:7], v[10:11], -v[6:7]
	s_mov_b32 s17, 0x3ff921fb
	v_add_f64 v[4:5], v[4:5], -v[6:7]
	v_mul_f64 v[6:7], v[10:11], s[16:17]
	s_mov_b32 s4, 0x33145c07
	v_fma_f64 v[12:13], v[10:11], s[16:17], -v[6:7]
	s_mov_b32 s5, 0x3c91a626
	v_fmac_f64_e32 v[12:13], s[4:5], v[10:11]
	v_fmac_f64_e32 v[12:13], s[16:17], v[4:5]
	v_add_f64 v[10:11], v[6:7], v[12:13]
	v_add_f64 v[4:5], v[10:11], -v[6:7]
	v_add_f64 v[12:13], v[12:13], -v[4:5]
	s_andn2_saveexec_b64 s[4:5], s[18:19]
	s_cbranch_execz .LBB8_126
	s_branch .LBB8_125
.LBB8_95:
	s_andn2_saveexec_b64 s[10:11], s[10:11]
	s_cbranch_execz .LBB8_35
.LBB8_96:
	v_mov_b32_e32 v2, 22
	v_cmp_gt_i16_sdwa s[6:7], v3, v2 src0_sel:BYTE_0 src1_sel:DWORD
	s_mov_b64 s[14:15], s[8:9]
                                        ; implicit-def: $vgpr4_vgpr5
	s_and_saveexec_b64 s[16:17], s[6:7]
	s_xor_b64 s[6:7], exec, s[16:17]
	s_cbranch_execz .LBB8_112
; %bb.97:
	v_mov_b32_e32 v2, 23
	v_cmp_gt_i16_sdwa s[14:15], v3, v2 src0_sel:BYTE_0 src1_sel:DWORD
                                        ; implicit-def: $vgpr4_vgpr5
	s_and_saveexec_b64 s[16:17], s[14:15]
	s_xor_b64 s[14:15], exec, s[16:17]
	s_cbranch_execz .LBB8_109
; %bb.98:
	v_mov_b32_e32 v2, 24
	v_cmp_gt_i16_sdwa s[16:17], v3, v2 src0_sel:BYTE_0 src1_sel:DWORD
                                        ; implicit-def: $vgpr4_vgpr5
	s_and_saveexec_b64 s[18:19], s[16:17]
	s_xor_b64 s[16:17], exec, s[18:19]
	s_cbranch_execz .LBB8_106
; %bb.99:
	flat_load_ubyte v2, v[0:1]
	s_movk_i32 s18, 0x7f
                                        ; implicit-def: $sgpr20_sgpr21
	s_waitcnt vmcnt(0) lgkmcnt(0)
	v_cmp_lt_i16_e32 vcc, s18, v2
	s_mov_b64 s[18:19], 0
	s_and_saveexec_b64 s[22:23], vcc
	s_xor_b64 s[22:23], exec, s[22:23]
	s_cbranch_execz .LBB8_135
; %bb.100:
	s_movk_i32 s18, 0x80
	v_cmp_eq_u16_e32 vcc, s18, v2
	s_mov_b64 s[24:25], -1
                                        ; implicit-def: $sgpr20_sgpr21
	s_and_saveexec_b64 s[18:19], vcc
; %bb.101:
	s_mov_b32 s21, 0x7ff80000
	s_brev_b32 s20, 4
	s_xor_b64 s[24:25], exec, -1
; %bb.102:
	s_or_b64 exec, exec, s[18:19]
	s_and_b64 s[18:19], s[24:25], exec
	s_or_saveexec_b64 s[22:23], s[22:23]
	v_pk_mov_b32 v[4:5], s[20:21], s[20:21] op_sel:[0,1]
	s_xor_b64 exec, exec, s[22:23]
	s_cbranch_execnz .LBB8_136
.LBB8_103:
	s_or_b64 exec, exec, s[22:23]
	s_and_saveexec_b64 s[20:21], s[18:19]
	s_cbranch_execz .LBB8_105
.LBB8_104:
	v_lshlrev_b32_e32 v3, 24, v2
	v_and_b32_e32 v2, 0xffff, v2
	v_and_b32_e32 v4, 3, v2
	v_ffbh_u32_e32 v6, v4
	v_min_u32_e32 v6, 32, v6
	v_subrev_u32_e32 v7, 29, v6
	v_bfe_u32 v5, v2, 2, 5
	v_lshlrev_b32_e32 v2, v7, v2
	v_sub_u32_e32 v6, 30, v6
	v_and_b32_e32 v2, 3, v2
	v_cmp_eq_u32_e32 vcc, 0, v5
	v_cndmask_b32_e32 v5, v5, v6, vcc
	v_cndmask_b32_e32 v2, v4, v2, vcc
	v_mov_b32_e32 v4, 0x37800000
	v_lshlrev_b32_e32 v2, 21, v2
	v_and_b32_e32 v3, 0x80000000, v3
	v_lshl_add_u32 v4, v5, 23, v4
	v_or3_b32 v2, v3, v4, v2
	v_cvt_f64_f32_e32 v[4:5], v2
.LBB8_105:
	s_or_b64 exec, exec, s[20:21]
.LBB8_106:
	s_andn2_saveexec_b64 s[16:17], s[16:17]
	s_cbranch_execz .LBB8_108
; %bb.107:
	flat_load_ubyte v2, v[0:1]
	s_mov_b32 s18, 0x7f800000
	s_waitcnt vmcnt(0) lgkmcnt(0)
	v_lshlrev_b32_e32 v2, 24, v2
	v_and_b32_e32 v3, 0x7f000000, v2
	v_ffbh_u32_e32 v4, v3
	v_min_u32_e32 v4, 32, v4
	v_sub_u32_e64 v4, v4, 4 clamp
	v_lshlrev_b32_e32 v6, v4, v3
	v_lshlrev_b32_e32 v4, 23, v4
	v_lshrrev_b32_e32 v6, 4, v6
	v_add_u32_e32 v5, 0x1000000, v3
	v_sub_u32_e32 v4, v6, v4
	v_ashrrev_i32_e32 v5, 8, v5
	v_add_u32_e32 v4, 0x3c000000, v4
	v_and_or_b32 v4, v5, s18, v4
	v_cmp_ne_u32_e32 vcc, 0, v3
	v_cndmask_b32_e32 v3, 0, v4, vcc
	s_brev_b32 s18, 1
	v_and_or_b32 v2, v2, s18, v3
	v_cvt_f64_f32_e32 v[4:5], v2
.LBB8_108:
	s_or_b64 exec, exec, s[16:17]
.LBB8_109:
	s_andn2_saveexec_b64 s[14:15], s[14:15]
	s_cbranch_execz .LBB8_111
; %bb.110:
	flat_load_ubyte v2, v[0:1]
	s_movk_i32 s16, 0x7f00
	s_brev_b32 s17, 16
	s_waitcnt vmcnt(0) lgkmcnt(0)
	v_lshlrev_b16_e32 v3, 8, v2
	v_lshlrev_b32_e32 v2, 25, v2
	v_lshrrev_b32_e32 v4, 4, v2
	v_and_or_b32 v5, v3, s16, 0.5
	v_or_b32_e32 v4, 0x70000000, v4
	v_add_f32_e32 v5, -0.5, v5
	v_mul_f32_e32 v4, 0x7800000, v4
	v_cmp_gt_u32_e32 vcc, s17, v2
	v_bfe_i32 v3, v3, 0, 16
	v_cndmask_b32_e32 v2, v4, v5, vcc
	s_brev_b32 s16, 1
	v_and_or_b32 v2, v3, s16, v2
	v_cvt_f64_f32_e32 v[4:5], v2
.LBB8_111:
	s_or_b64 exec, exec, s[14:15]
	s_or_b64 s[14:15], s[8:9], exec
                                        ; implicit-def: $vgpr3
.LBB8_112:
	s_or_saveexec_b64 s[6:7], s[6:7]
	s_mov_b64 s[18:19], 0
	s_mov_b64 s[16:17], s[12:13]
	s_xor_b64 exec, exec, s[6:7]
	s_cbranch_execz .LBB8_120
; %bb.113:
	v_mov_b32_e32 v2, 14
	v_cmp_gt_i16_sdwa s[20:21], v3, v2 src0_sel:BYTE_0 src1_sel:DWORD
	s_mov_b64 s[16:17], s[12:13]
	s_mov_b64 s[18:19], s[14:15]
                                        ; implicit-def: $vgpr4_vgpr5
	s_and_saveexec_b64 s[22:23], s[20:21]
	s_xor_b64 s[20:21], exec, s[22:23]
	s_cbranch_execz .LBB8_117
; %bb.114:
	v_mov_b32_e32 v2, 15
	v_cmp_eq_u16_sdwa s[24:25], v3, v2 src0_sel:BYTE_0 src1_sel:DWORD
	s_mov_b64 s[16:17], -1
	s_mov_b64 s[18:19], s[14:15]
                                        ; implicit-def: $vgpr4_vgpr5
	s_and_saveexec_b64 s[22:23], s[24:25]
	s_cbranch_execz .LBB8_116
; %bb.115:
	flat_load_ushort v2, v[0:1]
	s_or_b64 s[18:19], s[14:15], exec
	s_xor_b64 s[16:17], exec, -1
	s_waitcnt vmcnt(0) lgkmcnt(0)
	v_lshlrev_b32_e32 v2, 16, v2
	v_cvt_f64_f32_e32 v[4:5], v2
.LBB8_116:
	s_or_b64 exec, exec, s[22:23]
	s_andn2_b64 s[22:23], s[14:15], exec
	s_and_b64 s[18:19], s[18:19], exec
	s_or_b64 s[18:19], s[22:23], s[18:19]
	s_andn2_b64 s[22:23], s[12:13], exec
	s_and_b64 s[16:17], s[16:17], exec
	s_or_b64 s[16:17], s[22:23], s[16:17]
                                        ; implicit-def: $vgpr3
.LBB8_117:
	s_or_saveexec_b64 s[20:21], s[20:21]
	s_mov_b64 s[22:23], 0
	s_xor_b64 exec, exec, s[20:21]
; %bb.118:
	v_mov_b32_e32 v2, 11
	v_cmp_ne_u16_sdwa s[24:25], v3, v2 src0_sel:BYTE_0 src1_sel:DWORD
	s_andn2_b64 s[16:17], s[16:17], exec
	s_and_b64 s[24:25], s[24:25], exec
	s_mov_b64 s[22:23], exec
	s_or_b64 s[16:17], s[16:17], s[24:25]
                                        ; implicit-def: $vgpr4_vgpr5
; %bb.119:
	s_or_b64 exec, exec, s[20:21]
	s_andn2_b64 s[14:15], s[14:15], exec
	s_and_b64 s[18:19], s[18:19], exec
	s_andn2_b64 s[20:21], s[12:13], exec
	s_and_b64 s[16:17], s[16:17], exec
	s_or_b64 s[14:15], s[14:15], s[18:19]
	s_and_b64 s[18:19], s[22:23], exec
	s_or_b64 s[16:17], s[20:21], s[16:17]
.LBB8_120:
	s_or_b64 exec, exec, s[6:7]
	s_andn2_b64 s[6:7], s[8:9], exec
	s_and_b64 s[8:9], s[14:15], exec
	s_andn2_b64 s[12:13], s[12:13], exec
	s_and_b64 s[14:15], s[16:17], exec
	s_or_b64 s[8:9], s[6:7], s[8:9]
	s_and_b64 s[6:7], s[18:19], exec
	s_or_b64 s[12:13], s[12:13], s[14:15]
	s_or_b64 exec, exec, s[10:11]
	s_and_saveexec_b64 s[10:11], s[12:13]
	s_cbranch_execz .LBB8_36
.LBB8_121:
	s_trap 2
	; divergent unreachable
	s_andn2_b64 s[6:7], s[6:7], exec
                                        ; implicit-def: $vgpr4_vgpr5
	s_or_b64 exec, exec, s[10:11]
	s_and_saveexec_b64 s[10:11], s[6:7]
	s_xor_b64 s[6:7], exec, s[10:11]
	s_cbranch_execnz .LBB8_37
	s_branch .LBB8_38
.LBB8_122:
	s_or_saveexec_b64 s[22:23], s[22:23]
	v_pk_mov_b32 v[4:5], s[20:21], s[20:21] op_sel:[0,1]
	s_xor_b64 exec, exec, s[22:23]
	s_cbranch_execz .LBB8_30
.LBB8_123:
	v_cmp_ne_u16_e32 vcc, 0, v2
	s_andn2_b64 s[18:19], s[18:19], exec
	s_and_b64 s[20:21], vcc, exec
	v_pk_mov_b32 v[4:5], 0, 0
	s_or_b64 s[18:19], s[18:19], s[20:21]
	s_or_b64 exec, exec, s[22:23]
	s_and_saveexec_b64 s[20:21], s[18:19]
	s_cbranch_execnz .LBB8_31
	s_branch .LBB8_32
.LBB8_124:
	s_andn2_saveexec_b64 s[4:5], s[18:19]
	s_cbranch_execz .LBB8_126
.LBB8_125:
	s_mov_b32 s16, 0x6dc9c883
	s_mov_b32 s17, 0x3fe45f30
	v_mul_f64 v[4:5], |v[2:3]|, s[16:17]
	s_mov_b32 s16, 0x54442d18
	v_rndne_f64_e32 v[4:5], v[4:5]
	s_mov_b32 s17, 0xbff921fb
	v_fma_f64 v[6:7], v[4:5], s[16:17], |v[2:3]|
	s_mov_b32 s17, 0xbc91a626
	s_mov_b32 s16, 0x33145c00
	v_mul_f64 v[10:11], v[4:5], s[16:17]
	v_add_f64 v[22:23], v[6:7], v[10:11]
	v_fma_f64 v[12:13], s[16:17], v[4:5], v[6:7]
	s_mov_b32 s17, 0x3c91a626
	v_add_f64 v[6:7], v[6:7], -v[22:23]
	v_fma_f64 v[20:21], s[16:17], v[4:5], v[10:11]
	v_add_f64 v[6:7], v[6:7], v[10:11]
	v_add_f64 v[10:11], v[22:23], -v[12:13]
	v_add_f64 v[6:7], v[10:11], v[6:7]
	s_mov_b32 s16, 0x252049c0
	v_add_f64 v[6:7], v[6:7], -v[20:21]
	s_mov_b32 s17, 0xb97b839a
	v_fmac_f64_e32 v[6:7], s[16:17], v[4:5]
	v_add_f64 v[10:11], v[12:13], v[6:7]
	v_add_f64 v[12:13], v[10:11], -v[12:13]
	v_add_f64 v[12:13], v[6:7], -v[12:13]
	v_cvt_i32_f64_e32 v27, v[4:5]
.LBB8_126:
	s_or_b64 exec, exec, s[4:5]
                                        ; implicit-def: $vgpr26
                                        ; implicit-def: $vgpr4_vgpr5
                                        ; implicit-def: $vgpr6_vgpr7
	s_and_saveexec_b64 s[4:5], s[14:15]
	s_xor_b64 s[14:15], exec, s[4:5]
	s_cbranch_execz .LBB8_128
; %bb.127:
	s_mov_b32 s4, 0
	s_mov_b32 s5, 0x7b000000
	s_movk_i32 s16, 0xff80
	v_and_b32_e32 v6, 0x7fffffff, v3
	v_ldexp_f64 v[4:5], |v[2:3]|, s16
	v_cmp_ge_f64_e64 vcc, |v[2:3]|, s[4:5]
	v_cndmask_b32_e32 v5, v6, v5, vcc
	v_cndmask_b32_e32 v4, v2, v4, vcc
	v_mul_f64 v[20:21], v[18:19], v[4:5]
	v_mul_f64 v[6:7], v[16:17], v[4:5]
	v_fma_f64 v[18:19], v[18:19], v[4:5], -v[20:21]
	v_add_f64 v[22:23], v[6:7], v[18:19]
	v_add_f64 v[24:25], v[20:21], v[22:23]
	s_mov_b32 s4, 0
	v_ldexp_f64 v[28:29], v[24:25], -2
	s_mov_b32 s5, 0x7ff00000
	v_fract_f64_e32 v[30:31], v[28:29]
	v_cmp_neq_f64_e64 vcc, |v[28:29]|, s[4:5]
	v_cndmask_b32_e32 v29, 0, v31, vcc
	v_cndmask_b32_e32 v28, 0, v30, vcc
	v_add_f64 v[30:31], v[22:23], -v[6:7]
	v_add_f64 v[18:19], v[18:19], -v[30:31]
	;; [unrolled: 1-line block ×4, first 2 shown]
	v_fma_f64 v[6:7], v[16:17], v[4:5], -v[6:7]
	v_mul_f64 v[16:17], v[14:15], v[4:5]
	v_add_f64 v[18:19], v[18:19], v[30:31]
	v_add_f64 v[30:31], v[16:17], v[6:7]
	;; [unrolled: 1-line block ×3, first 2 shown]
	v_add_f64 v[20:21], v[24:25], -v[20:21]
	v_add_f64 v[24:25], v[34:35], -v[30:31]
	;; [unrolled: 1-line block ×5, first 2 shown]
	v_add_f64 v[18:19], v[18:19], v[24:25]
	v_add_f64 v[24:25], v[30:31], -v[16:17]
	v_add_f64 v[6:7], v[6:7], -v[24:25]
	;; [unrolled: 1-line block ×4, first 2 shown]
	v_add_f64 v[6:7], v[6:7], v[24:25]
	v_add_f64 v[20:21], v[22:23], -v[20:21]
	v_add_f64 v[6:7], v[6:7], v[18:19]
	v_fma_f64 v[4:5], v[14:15], v[4:5], -v[16:17]
	v_add_f64 v[22:23], v[20:21], v[34:35]
	v_add_f64 v[4:5], v[4:5], v[6:7]
	v_ldexp_f64 v[6:7], v[28:29], 2
	v_add_f64 v[14:15], v[22:23], v[6:7]
	v_mov_b32_e32 v16, 0x40100000
	v_cmp_gt_f64_e32 vcc, 0, v[14:15]
	v_mov_b32_e32 v32, 0
	v_cndmask_b32_e32 v33, 0, v16, vcc
	v_add_f64 v[6:7], v[6:7], v[32:33]
	v_add_f64 v[14:15], v[22:23], v[6:7]
	v_cvt_i32_f64_e32 v16, v[14:15]
	v_cvt_f64_i32_e32 v[14:15], v16
	v_add_f64 v[6:7], v[6:7], -v[14:15]
	v_add_f64 v[20:21], v[22:23], -v[20:21]
	v_add_f64 v[14:15], v[22:23], v[6:7]
	v_add_f64 v[20:21], v[34:35], -v[20:21]
	v_add_f64 v[6:7], v[14:15], -v[6:7]
	v_add_f64 v[4:5], v[20:21], v[4:5]
	v_add_f64 v[6:7], v[22:23], -v[6:7]
	v_add_f64 v[4:5], v[4:5], v[6:7]
	v_cmp_le_f64_e32 vcc, 0.5, v[14:15]
	v_mov_b32_e32 v6, 0x3ff00000
	v_cndmask_b32_e32 v33, 0, v6, vcc
	v_addc_co_u32_e64 v26, s[4:5], 0, v16, vcc
	v_add_f64 v[6:7], v[14:15], -v[32:33]
	v_add_f64 v[14:15], v[6:7], v[4:5]
	s_mov_b32 s4, 0x54442d18
	v_add_f64 v[6:7], v[14:15], -v[6:7]
	s_mov_b32 s5, 0x3ff921fb
	v_add_f64 v[4:5], v[4:5], -v[6:7]
	v_mul_f64 v[6:7], v[14:15], s[4:5]
	s_mov_b32 s16, 0x33145c07
	v_fma_f64 v[16:17], v[14:15], s[4:5], -v[6:7]
	s_mov_b32 s17, 0x3c91a626
	v_fmac_f64_e32 v[16:17], s[16:17], v[14:15]
	v_fmac_f64_e32 v[16:17], s[4:5], v[4:5]
	v_add_f64 v[4:5], v[6:7], v[16:17]
	v_add_f64 v[6:7], v[4:5], -v[6:7]
	v_add_f64 v[6:7], v[16:17], -v[6:7]
	s_andn2_saveexec_b64 s[4:5], s[14:15]
	s_cbranch_execnz .LBB8_129
	s_branch .LBB8_130
.LBB8_128:
	s_andn2_saveexec_b64 s[4:5], s[14:15]
	s_cbranch_execz .LBB8_130
.LBB8_129:
	s_mov_b32 s14, 0x6dc9c883
	s_mov_b32 s15, 0x3fe45f30
	v_mul_f64 v[4:5], |v[2:3]|, s[14:15]
	s_mov_b32 s14, 0x54442d18
	v_rndne_f64_e32 v[14:15], v[4:5]
	s_mov_b32 s15, 0xbff921fb
	v_fma_f64 v[4:5], v[14:15], s[14:15], |v[2:3]|
	s_mov_b32 s15, 0xbc91a626
	s_mov_b32 s14, 0x33145c00
	v_mul_f64 v[16:17], v[14:15], s[14:15]
	v_add_f64 v[20:21], v[4:5], v[16:17]
	v_fma_f64 v[6:7], s[14:15], v[14:15], v[4:5]
	s_mov_b32 s15, 0x3c91a626
	v_add_f64 v[4:5], v[4:5], -v[20:21]
	v_fma_f64 v[18:19], s[14:15], v[14:15], v[16:17]
	v_add_f64 v[4:5], v[4:5], v[16:17]
	v_add_f64 v[16:17], v[20:21], -v[6:7]
	v_add_f64 v[4:5], v[16:17], v[4:5]
	s_mov_b32 s14, 0x252049c0
	v_add_f64 v[16:17], v[4:5], -v[18:19]
	s_mov_b32 s15, 0xb97b839a
	v_fmac_f64_e32 v[16:17], s[14:15], v[14:15]
	v_add_f64 v[4:5], v[6:7], v[16:17]
	v_add_f64 v[6:7], v[4:5], -v[6:7]
	v_add_f64 v[6:7], v[16:17], -v[6:7]
	v_cvt_i32_f64_e32 v26, v[14:15]
.LBB8_130:
	s_or_b64 exec, exec, s[4:5]
	v_div_scale_f64 v[14:15], s[4:5], v[8:9], v[8:9], 1.0
	v_rcp_f64_e32 v[16:17], v[14:15]
	v_div_scale_f64 v[18:19], vcc, 1.0, v[8:9], 1.0
	v_mov_b32_e32 v22, 0xaf76e73b
	v_fma_f64 v[20:21], -v[14:15], v[16:17], 1.0
	v_fmac_f64_e32 v[16:17], v[16:17], v[20:21]
	v_fma_f64 v[20:21], -v[14:15], v[16:17], 1.0
	v_fmac_f64_e32 v[16:17], v[16:17], v[20:21]
	v_mul_f64 v[20:21], v[18:19], v[16:17]
	v_fma_f64 v[14:15], -v[14:15], v[20:21], v[18:19]
	v_div_fmas_f64 v[14:15], v[14:15], v[16:17], v[20:21]
	v_div_fixup_f64 v[8:9], v[14:15], v[8:9], 1.0
	v_mul_f64 v[14:15], v[8:9], v[8:9]
	v_mov_b32_e32 v16, 0xd50ae6fb
	v_mov_b32_e32 v17, 0xbfc0db6c
	v_fmac_f64_e32 v[16:17], 0, v[14:15]
	v_mov_b32_e32 v18, 0x98566852
	v_mov_b32_e32 v19, 0xbfe40bee
	v_fmac_f64_e32 v[18:19], v[14:15], v[16:17]
	;; [unrolled: 3-line block ×7, first 2 shown]
	v_mov_b32_e32 v16, 0x1d42366d
	v_mov_b32_e32 v17, 0xbec74a78
	;; [unrolled: 1-line block ×4, first 2 shown]
	v_fmac_f64_e32 v[16:17], v[14:15], v[20:21]
	v_fmac_f64_e32 v[18:19], 0, v[14:15]
	v_mov_b32_e32 v20, 0x44787b1a
	v_mov_b32_e32 v21, 0x4040575c
	v_fmac_f64_e32 v[20:21], v[14:15], v[18:19]
	v_mov_b32_e32 v18, 0xa3b73410
	v_mov_b32_e32 v19, 0x403abc98
	;; [unrolled: 3-line block ×6, first 2 shown]
	v_fmac_f64_e32 v[18:19], v[14:15], v[20:21]
	v_mov_b32_e32 v23, 0x3f13c8d7
	v_fmac_f64_e32 v[22:23], v[14:15], v[18:19]
	v_mov_b32_e32 v20, 0xb99518a7
	v_mov_b32_e32 v21, 0x3e9e52b9
	v_fmac_f64_e32 v[20:21], v[14:15], v[22:23]
	v_mov_b32_e32 v22, 0xf68ea2d2
	v_mov_b32_e32 v23, 0xbe52041c
	v_mul_f64 v[24:25], v[10:11], v[10:11]
	v_fmac_f64_e32 v[22:23], v[14:15], v[16:17]
	v_mul_f64 v[16:17], v[24:25], 0.5
	v_add_f64 v[18:19], -v[16:17], 1.0
	s_mov_b32 s4, 0x9037ab78
	v_add_f64 v[28:29], -v[18:19], 1.0
	s_mov_b32 s5, 0x3e21eeb6
	s_mov_b32 s14, 0x46cc5e42
	v_add_f64 v[28:29], v[28:29], -v[16:17]
	s_mov_b32 s15, 0xbda907db
	v_pk_mov_b32 v[16:17], s[4:5], s[4:5] op_sel:[0,1]
	s_mov_b32 s16, 0xa17f65f6
	v_fma_f64 v[32:33], s[14:15], v[24:25], v[16:17]
	s_mov_b32 s17, 0xbe927e4f
	s_mov_b32 s18, 0x19f4ec90
	v_fma_f64 v[32:33], v[24:25], v[32:33], s[16:17]
	s_mov_b32 s19, 0x3efa01a0
	s_mov_b32 s20, 0x16c16967
	v_fma_f64 v[32:33], v[24:25], v[32:33], s[18:19]
	s_mov_b32 s21, 0xbf56c16c
	s_mov_b32 s22, 0x55555555
	v_fma_f64 v[32:33], v[24:25], v[32:33], s[20:21]
	s_mov_b32 s23, 0x3fa55555
	v_mul_f64 v[30:31], v[24:25], v[24:25]
	v_fma_f64 v[32:33], v[24:25], v[32:33], s[22:23]
	v_fma_f64 v[28:29], v[10:11], -v[12:13], v[28:29]
	s_mov_b32 s4, 0xb42fdfa7
	v_fmac_f64_e32 v[28:29], v[30:31], v[32:33]
	s_mov_b32 s5, 0xbe5ae600
	s_mov_b32 s24, 0xf9a43bb8
	v_add_f64 v[28:29], v[18:19], v[28:29]
	s_mov_b32 s25, 0x3de5e0b2
	v_pk_mov_b32 v[18:19], s[4:5], s[4:5] op_sel:[0,1]
	s_mov_b32 s26, 0x796cde01
	v_fma_f64 v[30:31], s[24:25], v[24:25], v[18:19]
	s_mov_b32 s27, 0x3ec71de3
	s_mov_b32 s28, 0x19e83e5c
	v_fma_f64 v[30:31], v[24:25], v[30:31], s[26:27]
	s_mov_b32 s29, 0xbf2a01a0
	;; [unrolled: 3-line block ×3, first 2 shown]
	v_fma_f64 v[30:31], v[24:25], v[30:31], s[30:31]
	v_mul_f64 v[32:33], v[10:11], -v[24:25]
	v_mul_f64 v[34:35], v[12:13], 0.5
	v_fmac_f64_e32 v[34:35], v[32:33], v[30:31]
	v_fma_f64 v[12:13], v[24:25], v[34:35], -v[12:13]
	s_mov_b32 s35, 0xbfc55555
	s_mov_b32 s34, s22
	v_fmac_f64_e32 v[12:13], s[34:35], v[32:33]
	v_add_f64 v[10:11], v[10:11], -v[12:13]
	v_and_b32_e32 v12, 1, v27
	v_cmp_eq_u32_e32 vcc, 0, v12
	v_cndmask_b32_e32 v28, v28, v10, vcc
	v_cndmask_b32_e32 v10, v29, v11, vcc
	v_lshlrev_b32_e32 v11, 30, v27
	v_xor_b32_e32 v11, v11, v3
	v_and_b32_e32 v11, 0x80000000, v11
	v_xor_b32_e32 v27, v10, v11
	v_mul_f64 v[10:11], v[14:15], v[22:23]
	v_div_scale_f64 v[12:13], s[4:5], v[20:21], v[20:21], v[10:11]
	v_rcp_f64_e32 v[24:25], v[12:13]
	s_movk_i32 vcc_lo, 0x1f8
	v_cmp_class_f64_e64 s[4:5], v[2:3], vcc_lo
	v_cndmask_b32_e64 v2, 0, v28, s[4:5]
	v_fma_f64 v[28:29], -v[12:13], v[24:25], 1.0
	v_fmac_f64_e32 v[24:25], v[24:25], v[28:29]
	v_fma_f64 v[28:29], -v[12:13], v[24:25], 1.0
	v_fmac_f64_e32 v[24:25], v[24:25], v[28:29]
	v_div_scale_f64 v[28:29], vcc, v[10:11], v[20:21], v[10:11]
	v_mul_f64 v[30:31], v[28:29], v[24:25]
	v_fma_f64 v[12:13], -v[12:13], v[30:31], v[28:29]
	v_mov_b32_e32 v28, 0xdb0724e8
	s_nop 0
	v_div_fmas_f64 v[12:13], v[12:13], v[24:25], v[30:31]
	v_div_fixup_f64 v[10:11], v[12:13], v[20:21], v[10:11]
	v_mov_b32_e32 v12, 0xddcfbbde
	v_mov_b32_e32 v13, 0x3f943525
	v_fmac_f64_e32 v[12:13], 0, v[14:15]
	v_mov_b32_e32 v20, 0x6437b7
	v_mov_b32_e32 v21, 0x3fd907d5
	v_fmac_f64_e32 v[20:21], v[14:15], v[12:13]
	;; [unrolled: 3-line block ×16, first 2 shown]
	v_mov_b32_e32 v24, 0xed64a9ee
	v_mov_b32_e32 v25, 0x3fb6221d
	s_mov_b32 vcc_lo, 0
	v_fmac_f64_e32 v[24:25], v[14:15], v[20:21]
	v_mov_b32_e32 v20, 0x6be393bb
	v_mov_b32_e32 v21, 0x3f70e704
	s_brev_b32 vcc_hi, 8
	v_fmac_f64_e32 v[20:21], v[14:15], v[24:25]
	v_mov_b32_e32 v24, 0xd603a5a0
	v_mov_b32_e32 v25, 0x3f1a8b61
	v_cmp_gt_f64_e32 vcc, vcc, v[0:1]
	v_fmac_f64_e32 v[24:25], v[14:15], v[20:21]
	v_cndmask_b32_e64 v20, 0, 1, vcc
	v_lshlrev_b32_e32 v20, 8, v20
	v_ldexp_f64 v[0:1], v[0:1], v20
	v_rsq_f64_e32 v[20:21], v[0:1]
	v_mov_b32_e32 v29, 0x3eb3a845
	v_fmac_f64_e32 v[28:29], v[14:15], v[24:25]
	v_mov_b32_e32 v23, 0x260
	v_mul_f64 v[24:25], v[0:1], v[20:21]
	v_mul_f64 v[20:21], v[20:21], 0.5
	v_fma_f64 v[30:31], -v[20:21], v[24:25], 0.5
	v_fmac_f64_e32 v[24:25], v[24:25], v[30:31]
	v_fma_f64 v[32:33], -v[24:25], v[24:25], v[0:1]
	v_fmac_f64_e32 v[20:21], v[20:21], v[30:31]
	v_fmac_f64_e32 v[24:25], v[32:33], v[20:21]
	v_fma_f64 v[30:31], -v[24:25], v[24:25], v[0:1]
	v_fmac_f64_e32 v[24:25], v[30:31], v[20:21]
	v_mov_b32_e32 v20, 0xffffff80
	v_cndmask_b32_e32 v20, 0, v20, vcc
	v_ldexp_f64 v[20:21], v[24:25], v20
	v_cmp_class_f64_e32 vcc, v[0:1], v23
	s_mov_b32 s36, 0x50429b6d
	v_cndmask_b32_e32 v21, v21, v1, vcc
	v_cndmask_b32_e32 v20, v20, v0, vcc
	s_mov_b32 s37, 0x3fe20dd7
	v_div_scale_f64 v[24:25], vcc, v[20:21], v[20:21], s[36:37]
	v_rcp_f64_e32 v[30:31], v[24:25]
	v_mov_b32_e32 v0, 0x3dd589d4
	v_mov_b32_e32 v1, 0x3e351fc7
	v_fmac_f64_e32 v[0:1], v[14:15], v[28:29]
	v_fma_f64 v[14:15], -v[24:25], v[30:31], 1.0
	v_fmac_f64_e32 v[30:31], v[30:31], v[14:15]
	v_fma_f64 v[14:15], -v[24:25], v[30:31], 1.0
	v_fmac_f64_e32 v[30:31], v[30:31], v[14:15]
	v_div_scale_f64 v[14:15], vcc, s[36:37], v[20:21], s[36:37]
	v_mul_f64 v[28:29], v[14:15], v[30:31]
	v_fma_f64 v[14:15], -v[24:25], v[28:29], v[14:15]
	v_mov_b32_e32 v22, 0x7ff80000
	s_nop 0
	v_div_fmas_f64 v[14:15], v[14:15], v[30:31], v[28:29]
	v_div_fixup_f64 v[14:15], v[14:15], v[20:21], s[36:37]
	v_mul_f64 v[20:21], v[4:5], v[4:5]
	v_mul_f64 v[24:25], v[20:21], 0.5
	v_fmac_f64_e32 v[16:17], s[14:15], v[20:21]
	v_add_f64 v[28:29], -v[24:25], 1.0
	v_fma_f64 v[16:17], v[20:21], v[16:17], s[16:17]
	v_add_f64 v[30:31], -v[28:29], 1.0
	v_fma_f64 v[16:17], v[20:21], v[16:17], s[18:19]
	v_add_f64 v[24:25], v[30:31], -v[24:25]
	v_fma_f64 v[16:17], v[20:21], v[16:17], s[20:21]
	v_fmac_f64_e32 v[18:19], s[24:25], v[20:21]
	v_mul_f64 v[30:31], v[20:21], v[20:21]
	v_fma_f64 v[16:17], v[20:21], v[16:17], s[22:23]
	v_fma_f64 v[24:25], v[4:5], -v[6:7], v[24:25]
	v_fma_f64 v[18:19], v[20:21], v[18:19], s[26:27]
	v_fmac_f64_e32 v[24:25], v[30:31], v[16:17]
	v_fma_f64 v[18:19], v[20:21], v[18:19], s[28:29]
	v_add_f64 v[16:17], v[28:29], v[24:25]
	v_fma_f64 v[18:19], v[20:21], v[18:19], s[30:31]
	v_mul_f64 v[24:25], v[4:5], -v[20:21]
	v_mul_f64 v[28:29], v[6:7], 0.5
	v_fmac_f64_e32 v[28:29], v[24:25], v[18:19]
	v_fma_f64 v[6:7], v[20:21], v[28:29], -v[6:7]
	v_fmac_f64_e32 v[6:7], s[34:35], v[24:25]
	v_add_f64 v[4:5], v[4:5], -v[6:7]
	v_and_b32_e32 v6, 1, v26
	v_cmp_eq_u32_e32 vcc, 0, v6
	v_xor_b32_e32 v5, 0x80000000, v5
	v_cndmask_b32_e32 v16, v4, v16, vcc
	v_lshlrev_b32_e32 v4, 30, v26
	v_cndmask_b32_e32 v17, v5, v17, vcc
	v_and_b32_e32 v18, 0x80000000, v4
	v_mul_f64 v[4:5], v[8:9], v[12:13]
	v_div_scale_f64 v[6:7], s[14:15], v[0:1], v[0:1], v[4:5]
	v_rcp_f64_e32 v[8:9], v[6:7]
	v_xor_b32_e32 v13, v17, v18
	v_cndmask_b32_e64 v12, 0, v16, s[4:5]
	v_cndmask_b32_e64 v13, v22, v13, s[4:5]
	v_fma_f64 v[16:17], -v[6:7], v[8:9], 1.0
	v_fmac_f64_e32 v[8:9], v[8:9], v[16:17]
	v_fma_f64 v[16:17], -v[6:7], v[8:9], 1.0
	v_fmac_f64_e32 v[8:9], v[8:9], v[16:17]
	v_div_scale_f64 v[16:17], vcc, v[4:5], v[0:1], v[4:5]
	v_mul_f64 v[18:19], v[16:17], v[8:9]
	v_fma_f64 v[6:7], -v[6:7], v[18:19], v[16:17]
	v_cndmask_b32_e64 v3, v22, v27, s[4:5]
	s_nop 0
	v_div_fmas_f64 v[6:7], v[6:7], v[8:9], v[18:19]
	v_div_fixup_f64 v[0:1], v[6:7], v[0:1], v[4:5]
	v_add_f64 v[10:11], v[10:11], 1.0
	v_mul_f64 v[0:1], v[0:1], v[12:13]
	v_fma_f64 v[0:1], v[10:11], v[2:3], -v[0:1]
	v_mul_f64 v[0:1], v[14:15], v[0:1]
.LBB8_131:
	s_or_b64 exec, exec, s[12:13]
.LBB8_132:
	s_or_b64 exec, exec, s[10:11]
.LBB8_133:
	s_or_b64 exec, exec, s[8:9]
.LBB8_134:
	s_or_b64 exec, exec, s[6:7]
	v_readlane_b32 s30, v36, 4
	v_readlane_b32 s31, v36, 5
	;; [unrolled: 1-line block ×6, first 2 shown]
	s_xor_saveexec_b64 s[4:5], -1
	buffer_load_dword v36, off, s[0:3], s32 ; 4-byte Folded Reload
	s_mov_b64 exec, s[4:5]
	s_waitcnt vmcnt(0) lgkmcnt(0)
	s_setpc_b64 s[30:31]
.LBB8_135:
	s_or_saveexec_b64 s[22:23], s[22:23]
	v_pk_mov_b32 v[4:5], s[20:21], s[20:21] op_sel:[0,1]
	s_xor_b64 exec, exec, s[22:23]
	s_cbranch_execz .LBB8_103
.LBB8_136:
	v_cmp_ne_u16_e32 vcc, 0, v2
	s_andn2_b64 s[18:19], s[18:19], exec
	s_and_b64 s[20:21], vcc, exec
	v_pk_mov_b32 v[4:5], 0, 0
	s_or_b64 s[18:19], s[18:19], s[20:21]
	s_or_b64 exec, exec, s[22:23]
	s_and_saveexec_b64 s[20:21], s[18:19]
	s_cbranch_execnz .LBB8_104
	s_branch .LBB8_105
.Lfunc_end8:
	.size	_ZN2at6native6invokeIZZZNS0_12_GLOBAL__N_119airy_ai_kernel_cudaERNS_18TensorIteratorBaseEENKUlvE_clEvENKUlvE_clEvEUldE_i15function_traitsIS7_EEENT1_11result_typeERKT_PrKPcPKT0_PKN3c1010ScalarTypeEi, .Lfunc_end8-_ZN2at6native6invokeIZZZNS0_12_GLOBAL__N_119airy_ai_kernel_cudaERNS_18TensorIteratorBaseEENKUlvE_clEvENKUlvE_clEvEUldE_i15function_traitsIS7_EEENT1_11result_typeERKT_PrKPcPKT0_PKN3c1010ScalarTypeEi
                                        ; -- End function
	.section	.AMDGPU.csdata,"",@progbits
; Function info:
; codeLenInByte = 8616
; NumSgprs: 42
; NumVgprs: 37
; NumAgprs: 0
; TotalNumVgprs: 37
; ScratchSize: 8
; MemoryBound: 1
	.section	.text._ZN2at6native32elementwise_kernel_manual_unrollILi128ELi4EZNS0_15gpu_kernel_implIZZZNS0_12_GLOBAL__N_119airy_ai_kernel_cudaERNS_18TensorIteratorBaseEENKUlvE_clEvENKUlvE_clEvEUldE_EEvS5_RKT_EUlibE_EEviT1_,"axG",@progbits,_ZN2at6native32elementwise_kernel_manual_unrollILi128ELi4EZNS0_15gpu_kernel_implIZZZNS0_12_GLOBAL__N_119airy_ai_kernel_cudaERNS_18TensorIteratorBaseEENKUlvE_clEvENKUlvE_clEvEUldE_EEvS5_RKT_EUlibE_EEviT1_,comdat
	.globl	_ZN2at6native32elementwise_kernel_manual_unrollILi128ELi4EZNS0_15gpu_kernel_implIZZZNS0_12_GLOBAL__N_119airy_ai_kernel_cudaERNS_18TensorIteratorBaseEENKUlvE_clEvENKUlvE_clEvEUldE_EEvS5_RKT_EUlibE_EEviT1_ ; -- Begin function _ZN2at6native32elementwise_kernel_manual_unrollILi128ELi4EZNS0_15gpu_kernel_implIZZZNS0_12_GLOBAL__N_119airy_ai_kernel_cudaERNS_18TensorIteratorBaseEENKUlvE_clEvENKUlvE_clEvEUldE_EEvS5_RKT_EUlibE_EEviT1_
	.p2align	8
	.type	_ZN2at6native32elementwise_kernel_manual_unrollILi128ELi4EZNS0_15gpu_kernel_implIZZZNS0_12_GLOBAL__N_119airy_ai_kernel_cudaERNS_18TensorIteratorBaseEENKUlvE_clEvENKUlvE_clEvEUldE_EEvS5_RKT_EUlibE_EEviT1_,@function
_ZN2at6native32elementwise_kernel_manual_unrollILi128ELi4EZNS0_15gpu_kernel_implIZZZNS0_12_GLOBAL__N_119airy_ai_kernel_cudaERNS_18TensorIteratorBaseEENKUlvE_clEvENKUlvE_clEvEUldE_EEvS5_RKT_EUlibE_EEviT1_: ; @_ZN2at6native32elementwise_kernel_manual_unrollILi128ELi4EZNS0_15gpu_kernel_implIZZZNS0_12_GLOBAL__N_119airy_ai_kernel_cudaERNS_18TensorIteratorBaseEENKUlvE_clEvENKUlvE_clEvEUldE_EEvS5_RKT_EUlibE_EEviT1_
; %bb.0:
	v_mov_b32_e32 v1, 0
	global_load_ushort v46, v1, s[4:5] offset:33
	s_load_dwordx4 s[40:43], s[4:5], 0x8
	s_load_dwordx2 s[38:39], s[4:5], 0x18
	s_load_dword s33, s[4:5], 0x0
	s_add_u32 flat_scratch_lo, s6, s9
	s_addc_u32 flat_scratch_hi, s7, 0
	v_lshl_or_b32 v37, s8, 9, v0
	s_add_u32 s0, s0, s9
	v_or_b32_e32 v45, 0x180, v37
	s_addc_u32 s1, s1, 0
	s_mov_b64 s[44:45], 0
	s_waitcnt lgkmcnt(0)
	v_cmp_le_i32_e32 vcc, s33, v45
	s_mov_b64 s[48:49], 0
	s_mov_b32 s32, 0
	s_waitcnt vmcnt(0)
	v_lshrrev_b16_e32 v44, 8, v46
	s_and_saveexec_b64 s[4:5], vcc
	s_xor_b64 s[46:47], exec, s[4:5]
	s_cbranch_execz .LBB9_508
; %bb.1:
	v_cmp_gt_i32_e32 vcc, s33, v37
	s_mov_b64 s[4:5], -1
	s_mov_b64 s[54:55], 0
	s_and_saveexec_b64 s[50:51], vcc
                                        ; implicit-def: $vgpr2_vgpr3
	s_cbranch_execz .LBB9_124
; %bb.2:
	v_mov_b32_e32 v0, s42
	v_mov_b32_e32 v1, s43
	;; [unrolled: 1-line block ×5, first 2 shown]
	s_getpc_b64 s[4:5]
	s_add_u32 s4, s4, _ZN2at6native6invokeIZZZNS0_12_GLOBAL__N_119airy_ai_kernel_cudaERNS_18TensorIteratorBaseEENKUlvE_clEvENKUlvE_clEvEUldE_i15function_traitsIS7_EEENT1_11result_typeERKT_PrKPcPKT0_PKN3c1010ScalarTypeEi@rel32@lo+4
	s_addc_u32 s5, s5, _ZN2at6native6invokeIZZZNS0_12_GLOBAL__N_119airy_ai_kernel_cudaERNS_18TensorIteratorBaseEENKUlvE_clEvENKUlvE_clEvEUldE_i15function_traitsIS7_EEENT1_11result_typeERKT_PrKPcPKT0_PKN3c1010ScalarTypeEi@rel32@hi+12
	s_swappc_b64 s[30:31], s[4:5]
	v_mul_lo_u32 v2, v37, s38
	v_ashrrev_i32_e32 v3, 31, v2
	v_mov_b32_e32 v5, s41
	v_add_co_u32_e32 v4, vcc, s40, v2
	v_mov_b32_e32 v2, 11
	v_addc_co_u32_e32 v5, vcc, v5, v3, vcc
	v_cmp_lt_i16_sdwa s[4:5], v46, v2 src0_sel:BYTE_0 src1_sel:DWORD
	s_and_b64 vcc, exec, s[4:5]
	s_cbranch_vccnz .LBB9_9
; %bb.3:
	v_mov_b32_e32 v2, 25
	v_cmp_gt_i16_sdwa s[4:5], v46, v2 src0_sel:BYTE_0 src1_sel:DWORD
	s_and_b64 vcc, exec, s[4:5]
	s_cbranch_vccz .LBB9_12
; %bb.4:
	v_mov_b32_e32 v2, 28
	v_cmp_gt_i16_sdwa s[4:5], v46, v2 src0_sel:BYTE_0 src1_sel:DWORD
	s_and_b64 vcc, exec, s[4:5]
	s_cbranch_vccz .LBB9_13
	;; [unrolled: 5-line block ×4, first 2 shown]
; %bb.7:
	v_mov_b32_e32 v2, 46
	v_cmp_eq_u16_sdwa s[6:7], v46, v2 src0_sel:BYTE_0 src1_sel:DWORD
	s_mov_b64 s[8:9], 0
	s_mov_b64 s[4:5], -1
	s_and_b64 vcc, exec, s[6:7]
	s_mov_b64 s[6:7], 0
	s_cbranch_vccz .LBB9_16
; %bb.8:
	v_cvt_f32_f64_e32 v2, v[0:1]
	v_bfe_u32 v3, v2, 16, 1
	s_movk_i32 s4, 0x7fff
	v_add3_u32 v3, v2, v3, s4
	v_lshrrev_b32_e32 v3, 16, v3
	v_mov_b32_e32 v6, 0x7fc0
	v_cmp_o_f32_e32 vcc, v2, v2
	v_cndmask_b32_e32 v2, v6, v3, vcc
	global_store_dword v[4:5], v2, off
	s_mov_b64 s[6:7], -1
	s_mov_b64 s[4:5], 0
	s_branch .LBB9_16
.LBB9_9:
	s_mov_b64 s[4:5], 0
	s_mov_b64 s[6:7], 0
	s_cbranch_execnz .LBB9_84
.LBB9_10:
	s_andn2_b64 vcc, exec, s[6:7]
	s_cbranch_vccnz .LBB9_122
.LBB9_11:
	v_add_u32_e32 v37, 0x80, v37
	s_mov_b64 s[6:7], -1
	s_branch .LBB9_123
.LBB9_12:
	s_mov_b64 s[4:5], 0
	s_mov_b64 s[6:7], 0
	s_cbranch_execnz .LBB9_43
	s_branch .LBB9_83
.LBB9_13:
	s_mov_b64 s[8:9], -1
	s_mov_b64 s[4:5], 0
	s_mov_b64 s[6:7], 0
	s_branch .LBB9_26
.LBB9_14:
	s_mov_b64 s[8:9], -1
	s_mov_b64 s[4:5], 0
	s_mov_b64 s[6:7], 0
	s_branch .LBB9_22
.LBB9_15:
	s_mov_b64 s[8:9], -1
	s_mov_b64 s[4:5], 0
	s_mov_b64 s[6:7], 0
.LBB9_16:
	s_and_b64 vcc, exec, s[8:9]
	s_cbranch_vccz .LBB9_21
; %bb.17:
	v_mov_b32_e32 v2, 44
	v_cmp_eq_u16_sdwa s[8:9], v46, v2 src0_sel:BYTE_0 src1_sel:DWORD
	s_mov_b64 s[4:5], -1
	s_and_b64 vcc, exec, s[8:9]
	s_cbranch_vccz .LBB9_21
; %bb.18:
	v_cvt_f32_f64_e32 v2, v[0:1]
	v_bfe_u32 v3, v2, 23, 8
	s_movk_i32 s4, 0xff
	v_cmp_ne_u32_e32 vcc, s4, v3
	v_mov_b32_e32 v6, 0xff
	s_and_saveexec_b64 s[6:7], vcc
; %bb.19:
	s_mov_b32 s4, 0x3fffff
	v_lshrrev_b32_e32 v6, 23, v2
	v_and_b32_e32 v7, 0x400000, v2
	v_and_or_b32 v2, v2, s4, v3
	v_cmp_ne_u32_e32 vcc, 0, v7
	v_cmp_ne_u32_e64 s[4:5], 0, v2
	s_and_b64 s[4:5], vcc, s[4:5]
	v_cndmask_b32_e64 v2, 0, 1, s[4:5]
	v_add_u32_e32 v6, v6, v2
; %bb.20:
	s_or_b64 exec, exec, s[6:7]
	s_mov_b64 s[6:7], -1
	s_mov_b64 s[4:5], 0
	global_store_byte v[4:5], v6, off
.LBB9_21:
	s_mov_b64 s[8:9], 0
.LBB9_22:
	s_and_b64 vcc, exec, s[8:9]
	s_cbranch_vccz .LBB9_25
; %bb.23:
	v_mov_b32_e32 v2, 29
	v_cmp_eq_u16_sdwa s[8:9], v46, v2 src0_sel:BYTE_0 src1_sel:DWORD
	s_mov_b64 s[4:5], -1
	s_and_b64 vcc, exec, s[8:9]
	s_cbranch_vccz .LBB9_25
; %bb.24:
	v_trunc_f64_e32 v[2:3], v[0:1]
	s_movk_i32 s4, 0xffe0
	v_ldexp_f64 v[6:7], v[2:3], s4
	v_floor_f64_e32 v[6:7], v[6:7]
	v_fmac_f64_e32 v[2:3], 0xc1f00000, v[6:7]
	v_cvt_u32_f64_e32 v9, v[6:7]
	v_cvt_u32_f64_e32 v8, v[2:3]
	global_store_dwordx2 v[4:5], v[8:9], off
	s_mov_b64 s[6:7], -1
	s_mov_b64 s[4:5], 0
.LBB9_25:
	s_mov_b64 s[8:9], 0
.LBB9_26:
	s_and_b64 vcc, exec, s[8:9]
	s_cbranch_vccz .LBB9_42
; %bb.27:
	v_mov_b32_e32 v2, 27
	v_cmp_lt_i16_sdwa s[8:9], v46, v2 src0_sel:BYTE_0 src1_sel:DWORD
	s_mov_b64 s[6:7], -1
	s_and_b64 vcc, exec, s[8:9]
	s_cbranch_vccnz .LBB9_33
; %bb.28:
	v_cmp_gt_i16_sdwa s[8:9], v46, v2 src0_sel:BYTE_0 src1_sel:DWORD
	s_and_b64 vcc, exec, s[8:9]
	v_cvt_u32_f64_e32 v2, v[0:1]
	s_cbranch_vccz .LBB9_30
; %bb.29:
	s_mov_b64 s[6:7], 0
	global_store_dword v[4:5], v2, off
.LBB9_30:
	s_andn2_b64 vcc, exec, s[6:7]
	s_cbranch_vccnz .LBB9_32
; %bb.31:
	global_store_short v[4:5], v2, off
.LBB9_32:
	s_mov_b64 s[6:7], 0
.LBB9_33:
	s_andn2_b64 vcc, exec, s[6:7]
	s_cbranch_vccnz .LBB9_41
; %bb.34:
	v_cvt_f32_f64_e32 v2, v[0:1]
	v_and_b32_e32 v3, 0x7fffffff, v2
	s_mov_b32 s6, 0x43800000
	v_cmp_gt_u32_e32 vcc, s6, v3
	v_mov_b32_e32 v6, 0x80
	s_and_saveexec_b64 s[6:7], vcc
	s_cbranch_execz .LBB9_40
; %bb.35:
	s_mov_b32 s8, 0x3bffffff
	v_cmp_lt_u32_e32 vcc, s8, v3
	s_mov_b64 s[8:9], 0
                                        ; implicit-def: $vgpr3
	s_and_saveexec_b64 s[10:11], vcc
	s_xor_b64 s[10:11], exec, s[10:11]
	s_cbranch_execz .LBB9_141
; %bb.36:
	v_bfe_u32 v3, v2, 20, 1
	s_mov_b32 s12, 0x487ffff
	v_add3_u32 v3, v2, v3, s12
	s_mov_b64 s[8:9], exec
	v_lshrrev_b32_e32 v3, 20, v3
	s_or_saveexec_b64 s[10:11], s[10:11]
                                        ; implicit-def: $sgpr12
	s_xor_b64 exec, exec, s[10:11]
	s_cbranch_execnz .LBB9_142
.LBB9_37:
	s_or_b64 exec, exec, s[10:11]
	v_mov_b32_e32 v6, s12
	s_and_saveexec_b64 s[10:11], s[8:9]
.LBB9_38:
	v_lshrrev_b32_e32 v2, 24, v2
	s_movk_i32 s8, 0x80
	v_and_or_b32 v6, v2, s8, v3
.LBB9_39:
	s_or_b64 exec, exec, s[10:11]
.LBB9_40:
	s_or_b64 exec, exec, s[6:7]
	global_store_byte v[4:5], v6, off
.LBB9_41:
	s_mov_b64 s[6:7], -1
.LBB9_42:
	s_branch .LBB9_83
.LBB9_43:
	v_mov_b32_e32 v2, 22
	v_cmp_gt_i16_sdwa s[10:11], v46, v2 src0_sel:BYTE_0 src1_sel:DWORD
	s_mov_b64 s[8:9], -1
	s_and_b64 vcc, exec, s[10:11]
	s_cbranch_vccz .LBB9_75
; %bb.44:
	v_mov_b32_e32 v2, 24
	v_cmp_lt_i16_sdwa s[8:9], v46, v2 src0_sel:BYTE_0 src1_sel:DWORD
	s_mov_b64 s[6:7], -1
	s_and_b64 vcc, exec, s[8:9]
	s_cbranch_vccnz .LBB9_64
; %bb.45:
	v_cmp_gt_i16_sdwa s[8:9], v46, v2 src0_sel:BYTE_0 src1_sel:DWORD
	s_and_b64 vcc, exec, s[8:9]
	s_cbranch_vccz .LBB9_53
; %bb.46:
	v_cvt_f32_f64_e32 v2, v[0:1]
	v_and_b32_e32 v3, 0x7fffffff, v2
	s_mov_b32 s6, 0x47800000
	v_cmp_gt_u32_e32 vcc, s6, v3
	v_mov_b32_e32 v6, 0x80
	s_and_saveexec_b64 s[6:7], vcc
	s_cbranch_execz .LBB9_52
; %bb.47:
	s_mov_b32 s8, 0x37ffffff
	v_cmp_lt_u32_e32 vcc, s8, v3
	s_mov_b64 s[8:9], 0
                                        ; implicit-def: $vgpr3
	s_and_saveexec_b64 s[10:11], vcc
	s_xor_b64 s[10:11], exec, s[10:11]
	s_cbranch_execz .LBB9_144
; %bb.48:
	v_bfe_u32 v3, v2, 21, 1
	s_mov_b32 s12, 0x88fffff
	v_add3_u32 v3, v2, v3, s12
	s_mov_b64 s[8:9], exec
	v_lshrrev_b32_e32 v3, 21, v3
	s_or_saveexec_b64 s[10:11], s[10:11]
                                        ; implicit-def: $sgpr12
	s_xor_b64 exec, exec, s[10:11]
	s_cbranch_execnz .LBB9_145
.LBB9_49:
	s_or_b64 exec, exec, s[10:11]
	v_mov_b32_e32 v6, s12
	s_and_saveexec_b64 s[10:11], s[8:9]
.LBB9_50:
	v_lshrrev_b32_e32 v2, 24, v2
	s_movk_i32 s8, 0x80
	v_and_or_b32 v6, v2, s8, v3
.LBB9_51:
	s_or_b64 exec, exec, s[10:11]
.LBB9_52:
	s_or_b64 exec, exec, s[6:7]
	s_mov_b64 s[6:7], 0
	global_store_byte v[4:5], v6, off
.LBB9_53:
	s_and_b64 vcc, exec, s[6:7]
	s_cbranch_vccz .LBB9_63
; %bb.54:
	v_cvt_f32_f64_e32 v2, v[0:1]
	v_and_b32_e32 v6, 0x7fffffff, v2
	s_mov_b32 s6, 0x43f00000
	v_cmp_gt_u32_e32 vcc, s6, v6
                                        ; implicit-def: $vgpr3
	s_and_saveexec_b64 s[6:7], vcc
	s_xor_b64 s[6:7], exec, s[6:7]
	s_cbranch_execz .LBB9_60
; %bb.55:
	s_mov_b32 s8, 0x3c7fffff
	v_cmp_lt_u32_e32 vcc, s8, v6
                                        ; implicit-def: $vgpr3
	s_and_saveexec_b64 s[8:9], vcc
	s_xor_b64 s[8:9], exec, s[8:9]
; %bb.56:
	v_bfe_u32 v3, v2, 20, 1
	s_mov_b32 s10, 0x407ffff
	v_add3_u32 v3, v2, v3, s10
	v_lshrrev_b32_e32 v6, 20, v3
	v_and_b32_e32 v3, 0xff00000, v3
	s_mov_b32 s10, 0x7f00000
	v_mov_b32_e32 v7, 0x7e
	v_cmp_ne_u32_e32 vcc, s10, v3
	v_cndmask_b32_e32 v3, v7, v6, vcc
; %bb.57:
	s_andn2_saveexec_b64 s[8:9], s[8:9]
; %bb.58:
	s_mov_b32 s10, 0x46800000
	v_add_f32_e64 v3, |v2|, s10
; %bb.59:
	s_or_b64 exec, exec, s[8:9]
                                        ; implicit-def: $vgpr6
.LBB9_60:
	s_andn2_saveexec_b64 s[6:7], s[6:7]
; %bb.61:
	s_mov_b32 s8, 0x7f800000
	v_mov_b32_e32 v3, 0x7e
	v_mov_b32_e32 v7, 0x7f
	v_cmp_lt_u32_e32 vcc, s8, v6
	v_cndmask_b32_e32 v3, v3, v7, vcc
; %bb.62:
	s_or_b64 exec, exec, s[6:7]
	v_lshrrev_b32_e32 v2, 24, v2
	s_movk_i32 s6, 0x80
	v_and_or_b32 v2, v2, s6, v3
	global_store_byte v[4:5], v2, off
.LBB9_63:
	s_mov_b64 s[6:7], 0
.LBB9_64:
	s_andn2_b64 vcc, exec, s[6:7]
	s_cbranch_vccnz .LBB9_74
; %bb.65:
	v_cvt_f32_f64_e32 v2, v[0:1]
	v_and_b32_e32 v6, 0x7fffffff, v2
	s_mov_b32 s6, 0x47800000
	v_cmp_gt_u32_e32 vcc, s6, v6
                                        ; implicit-def: $vgpr3
	s_and_saveexec_b64 s[6:7], vcc
	s_xor_b64 s[6:7], exec, s[6:7]
	s_cbranch_execz .LBB9_71
; %bb.66:
	s_mov_b32 s8, 0x387fffff
	v_cmp_lt_u32_e32 vcc, s8, v6
                                        ; implicit-def: $vgpr3
	s_and_saveexec_b64 s[8:9], vcc
	s_xor_b64 s[8:9], exec, s[8:9]
; %bb.67:
	v_bfe_u32 v3, v2, 21, 1
	s_mov_b32 s10, 0x80fffff
	v_add3_u32 v3, v2, v3, s10
	v_lshrrev_b32_e32 v3, 21, v3
; %bb.68:
	s_andn2_saveexec_b64 s[8:9], s[8:9]
; %bb.69:
	s_mov_b32 s10, 0x43000000
	v_add_f32_e64 v3, |v2|, s10
; %bb.70:
	s_or_b64 exec, exec, s[8:9]
                                        ; implicit-def: $vgpr6
.LBB9_71:
	s_andn2_saveexec_b64 s[6:7], s[6:7]
; %bb.72:
	s_mov_b32 s8, 0x7f800000
	v_mov_b32_e32 v3, 0x7c
	v_mov_b32_e32 v7, 0x7f
	v_cmp_lt_u32_e32 vcc, s8, v6
	v_cndmask_b32_e32 v3, v3, v7, vcc
; %bb.73:
	s_or_b64 exec, exec, s[6:7]
	v_lshrrev_b32_e32 v2, 24, v2
	s_movk_i32 s6, 0x80
	v_and_or_b32 v2, v2, s6, v3
	global_store_byte v[4:5], v2, off
.LBB9_74:
	s_mov_b64 s[8:9], 0
	s_mov_b64 s[6:7], -1
.LBB9_75:
	s_andn2_b64 vcc, exec, s[8:9]
	s_cbranch_vccnz .LBB9_83
; %bb.76:
	v_mov_b32_e32 v2, 14
	v_cmp_gt_i16_sdwa s[10:11], v46, v2 src0_sel:BYTE_0 src1_sel:DWORD
	s_mov_b64 s[8:9], -1
	s_and_b64 vcc, exec, s[10:11]
	s_cbranch_vccz .LBB9_80
; %bb.77:
	v_mov_b32_e32 v2, 15
	v_cmp_eq_u16_sdwa s[8:9], v46, v2 src0_sel:BYTE_0 src1_sel:DWORD
	s_mov_b64 s[4:5], -1
	s_and_b64 vcc, exec, s[8:9]
	s_cbranch_vccz .LBB9_79
; %bb.78:
	v_cvt_f32_f64_e32 v2, v[0:1]
	v_bfe_u32 v3, v2, 16, 1
	s_movk_i32 s4, 0x7fff
	v_add3_u32 v3, v2, v3, s4
	v_lshrrev_b32_e32 v3, 16, v3
	v_mov_b32_e32 v6, 0x7fc0
	v_cmp_o_f32_e32 vcc, v2, v2
	v_cndmask_b32_e32 v2, v6, v3, vcc
	global_store_short v[4:5], v2, off
	s_mov_b64 s[6:7], -1
	s_mov_b64 s[4:5], 0
.LBB9_79:
	s_mov_b64 s[8:9], 0
.LBB9_80:
	s_and_b64 vcc, exec, s[8:9]
	s_cbranch_vccz .LBB9_83
; %bb.81:
	v_mov_b32_e32 v2, 11
	v_cmp_eq_u16_sdwa s[8:9], v46, v2 src0_sel:BYTE_0 src1_sel:DWORD
	s_mov_b64 s[4:5], -1
	s_and_b64 vcc, exec, s[8:9]
	s_cbranch_vccz .LBB9_83
; %bb.82:
	v_cmp_neq_f64_e32 vcc, 0, v[0:1]
	s_mov_b64 s[4:5], 0
	v_cndmask_b32_e64 v2, 0, 1, vcc
	s_mov_b64 s[6:7], -1
	global_store_byte v[4:5], v2, off
.LBB9_83:
	s_branch .LBB9_10
.LBB9_84:
	v_mov_b32_e32 v2, 5
	v_cmp_lt_i16_sdwa s[8:9], v46, v2 src0_sel:BYTE_0 src1_sel:DWORD
	s_mov_b64 s[6:7], -1
	s_and_b64 vcc, exec, s[8:9]
	s_cbranch_vccnz .LBB9_105
; %bb.85:
	v_mov_b32_e32 v2, 8
	v_cmp_lt_i16_sdwa s[8:9], v46, v2 src0_sel:BYTE_0 src1_sel:DWORD
	s_and_b64 vcc, exec, s[8:9]
	s_cbranch_vccnz .LBB9_95
; %bb.86:
	v_mov_b32_e32 v2, 9
	v_cmp_lt_i16_sdwa s[8:9], v46, v2 src0_sel:BYTE_0 src1_sel:DWORD
	s_and_b64 vcc, exec, s[8:9]
	s_cbranch_vccnz .LBB9_92
; %bb.87:
	v_cmp_gt_i16_sdwa s[8:9], v46, v2 src0_sel:BYTE_0 src1_sel:DWORD
	s_and_b64 vcc, exec, s[8:9]
	s_cbranch_vccz .LBB9_89
; %bb.88:
	v_mov_b32_e32 v2, 0
	v_mov_b32_e32 v3, v2
	global_store_dwordx4 v[4:5], v[0:3], off
	s_mov_b64 s[6:7], 0
.LBB9_89:
	s_andn2_b64 vcc, exec, s[6:7]
	s_cbranch_vccnz .LBB9_91
; %bb.90:
	v_cvt_f32_f64_e32 v2, v[0:1]
	v_mov_b32_e32 v3, 0
	global_store_dwordx2 v[4:5], v[2:3], off
.LBB9_91:
	s_mov_b64 s[6:7], 0
.LBB9_92:
	s_andn2_b64 vcc, exec, s[6:7]
	s_cbranch_vccnz .LBB9_94
; %bb.93:
	v_cvt_f32_f64_e32 v2, v[0:1]
	v_cvt_f16_f32_e32 v2, v2
	global_store_dword v[4:5], v2, off
.LBB9_94:
	s_mov_b64 s[6:7], 0
.LBB9_95:
	s_andn2_b64 vcc, exec, s[6:7]
	s_cbranch_vccnz .LBB9_104
; %bb.96:
	v_mov_b32_e32 v2, 6
	v_cmp_lt_i16_sdwa s[8:9], v46, v2 src0_sel:BYTE_0 src1_sel:DWORD
	s_mov_b64 s[6:7], -1
	s_and_b64 vcc, exec, s[8:9]
	s_cbranch_vccnz .LBB9_102
; %bb.97:
	v_cmp_gt_i16_sdwa s[8:9], v46, v2 src0_sel:BYTE_0 src1_sel:DWORD
	s_and_b64 vcc, exec, s[8:9]
	s_cbranch_vccz .LBB9_99
; %bb.98:
	global_store_dwordx2 v[4:5], v[0:1], off
	s_mov_b64 s[6:7], 0
.LBB9_99:
	s_andn2_b64 vcc, exec, s[6:7]
	s_cbranch_vccnz .LBB9_101
; %bb.100:
	v_cvt_f32_f64_e32 v2, v[0:1]
	global_store_dword v[4:5], v2, off
.LBB9_101:
	s_mov_b64 s[6:7], 0
.LBB9_102:
	s_andn2_b64 vcc, exec, s[6:7]
	s_cbranch_vccnz .LBB9_104
; %bb.103:
	v_cvt_f32_f64_e32 v2, v[0:1]
	v_cvt_f16_f32_e32 v2, v2
	global_store_short v[4:5], v2, off
.LBB9_104:
	s_mov_b64 s[6:7], 0
.LBB9_105:
	s_andn2_b64 vcc, exec, s[6:7]
	s_cbranch_vccnz .LBB9_121
; %bb.106:
	v_mov_b32_e32 v2, 2
	v_cmp_lt_i16_sdwa s[8:9], v46, v2 src0_sel:BYTE_0 src1_sel:DWORD
	s_mov_b64 s[6:7], -1
	s_and_b64 vcc, exec, s[8:9]
	s_cbranch_vccnz .LBB9_116
; %bb.107:
	v_mov_b32_e32 v2, 3
	v_cmp_lt_i16_sdwa s[8:9], v46, v2 src0_sel:BYTE_0 src1_sel:DWORD
	s_and_b64 vcc, exec, s[8:9]
	s_cbranch_vccnz .LBB9_113
; %bb.108:
	v_cmp_gt_i16_sdwa s[8:9], v46, v2 src0_sel:BYTE_0 src1_sel:DWORD
	s_and_b64 vcc, exec, s[8:9]
	s_cbranch_vccz .LBB9_110
; %bb.109:
	v_trunc_f64_e32 v[2:3], v[0:1]
	s_movk_i32 s6, 0xffe0
	v_ldexp_f64 v[6:7], v[2:3], s6
	v_floor_f64_e32 v[6:7], v[6:7]
	v_fmac_f64_e32 v[2:3], 0xc1f00000, v[6:7]
	v_cvt_i32_f64_e32 v9, v[6:7]
	v_cvt_u32_f64_e32 v8, v[2:3]
	global_store_dwordx2 v[4:5], v[8:9], off
	s_mov_b64 s[6:7], 0
.LBB9_110:
	s_andn2_b64 vcc, exec, s[6:7]
	s_cbranch_vccnz .LBB9_112
; %bb.111:
	v_cvt_i32_f64_e32 v2, v[0:1]
	global_store_dword v[4:5], v2, off
.LBB9_112:
	s_mov_b64 s[6:7], 0
.LBB9_113:
	s_andn2_b64 vcc, exec, s[6:7]
	s_cbranch_vccnz .LBB9_115
; %bb.114:
	v_cvt_i32_f64_e32 v2, v[0:1]
	global_store_short v[4:5], v2, off
.LBB9_115:
	s_mov_b64 s[6:7], 0
.LBB9_116:
	s_andn2_b64 vcc, exec, s[6:7]
	s_cbranch_vccnz .LBB9_121
; %bb.117:
	v_mov_b32_e32 v2, 0
	v_cmp_gt_i16_sdwa s[8:9], v46, v2 src0_sel:BYTE_0 src1_sel:DWORD
	s_mov_b64 s[6:7], -1
	s_and_b64 vcc, exec, s[8:9]
	s_cbranch_vccz .LBB9_119
; %bb.118:
	v_cvt_i32_f64_e32 v2, v[0:1]
	global_store_byte v[4:5], v2, off
	s_mov_b64 s[6:7], 0
.LBB9_119:
	s_andn2_b64 vcc, exec, s[6:7]
	s_cbranch_vccnz .LBB9_121
; %bb.120:
	v_trunc_f64_e32 v[0:1], v[0:1]
	s_movk_i32 s6, 0xffe0
	v_ldexp_f64 v[2:3], v[0:1], s6
	v_floor_f64_e32 v[2:3], v[2:3]
	v_fmac_f64_e32 v[0:1], 0xc1f00000, v[2:3]
	v_cvt_u32_f64_e32 v0, v[0:1]
	global_store_byte v[4:5], v0, off
.LBB9_121:
	s_branch .LBB9_11
.LBB9_122:
	s_mov_b64 s[6:7], 0
                                        ; implicit-def: $vgpr37
.LBB9_123:
	s_and_b64 s[48:49], s[4:5], exec
	s_orn2_b64 s[4:5], s[6:7], exec
.LBB9_124:
	s_or_b64 exec, exec, s[50:51]
	s_mov_b64 s[6:7], 0
                                        ; implicit-def: $vgpr6
                                        ; implicit-def: $vgpr4_vgpr5
                                        ; implicit-def: $vgpr0_vgpr1
	s_and_saveexec_b64 s[50:51], s[4:5]
	s_cbranch_execz .LBB9_133
; %bb.125:
	v_cmp_gt_i32_e32 vcc, s33, v37
	s_mov_b64 s[8:9], -1
	s_mov_b64 s[52:53], s[48:49]
	s_and_saveexec_b64 s[54:55], vcc
	s_cbranch_execz .LBB9_256
; %bb.126:
	v_mov_b32_e32 v0, s42
	v_mov_b32_e32 v1, s43
	v_mov_b32_e32 v2, s39
	v_mov_b32_e32 v3, v44
	v_mov_b32_e32 v4, v37
	s_getpc_b64 s[4:5]
	s_add_u32 s4, s4, _ZN2at6native6invokeIZZZNS0_12_GLOBAL__N_119airy_ai_kernel_cudaERNS_18TensorIteratorBaseEENKUlvE_clEvENKUlvE_clEvEUldE_i15function_traitsIS7_EEENT1_11result_typeERKT_PrKPcPKT0_PKN3c1010ScalarTypeEi@rel32@lo+4
	s_addc_u32 s5, s5, _ZN2at6native6invokeIZZZNS0_12_GLOBAL__N_119airy_ai_kernel_cudaERNS_18TensorIteratorBaseEENKUlvE_clEvENKUlvE_clEvEUldE_i15function_traitsIS7_EEENT1_11result_typeERKT_PrKPcPKT0_PKN3c1010ScalarTypeEi@rel32@hi+12
	s_swappc_b64 s[30:31], s[4:5]
	v_mul_lo_u32 v2, v37, s38
	v_ashrrev_i32_e32 v3, 31, v2
	v_mov_b32_e32 v5, s41
	v_add_co_u32_e32 v4, vcc, s40, v2
	v_mov_b32_e32 v2, 11
	v_addc_co_u32_e32 v5, vcc, v5, v3, vcc
	v_cmp_lt_i16_sdwa s[4:5], v46, v2 src0_sel:BYTE_0 src1_sel:DWORD
	s_and_b64 vcc, exec, s[4:5]
	s_cbranch_vccnz .LBB9_136
; %bb.127:
	v_mov_b32_e32 v2, 25
	v_cmp_gt_i16_sdwa s[4:5], v46, v2 src0_sel:BYTE_0 src1_sel:DWORD
	s_and_b64 vcc, exec, s[4:5]
	s_cbranch_vccz .LBB9_139
; %bb.128:
	v_mov_b32_e32 v2, 28
	v_cmp_gt_i16_sdwa s[4:5], v46, v2 src0_sel:BYTE_0 src1_sel:DWORD
	s_and_b64 vcc, exec, s[4:5]
	s_cbranch_vccz .LBB9_140
	;; [unrolled: 5-line block ×4, first 2 shown]
; %bb.131:
	v_mov_b32_e32 v2, 46
	v_cmp_eq_u16_sdwa s[6:7], v46, v2 src0_sel:BYTE_0 src1_sel:DWORD
	s_mov_b64 s[8:9], 0
	s_mov_b64 s[4:5], -1
	s_and_b64 vcc, exec, s[6:7]
	s_mov_b64 s[6:7], 0
	s_cbranch_vccz .LBB9_147
; %bb.132:
	v_cvt_f32_f64_e32 v2, v[0:1]
	v_bfe_u32 v3, v2, 16, 1
	s_movk_i32 s4, 0x7fff
	v_add3_u32 v3, v2, v3, s4
	v_lshrrev_b32_e32 v3, 16, v3
	v_mov_b32_e32 v6, 0x7fc0
	v_cmp_o_f32_e32 vcc, v2, v2
	v_cndmask_b32_e32 v2, v6, v3, vcc
	global_store_dword v[4:5], v2, off
	s_mov_b64 s[6:7], -1
	s_mov_b64 s[4:5], 0
	s_branch .LBB9_147
.LBB9_133:
	s_or_b64 exec, exec, s[50:51]
	s_mov_b64 s[4:5], 0
	s_and_saveexec_b64 s[8:9], s[48:49]
	s_cbranch_execnz .LBB9_468
.LBB9_134:
	s_or_b64 exec, exec, s[8:9]
	s_and_saveexec_b64 s[8:9], s[54:55]
	s_xor_b64 s[8:9], exec, s[8:9]
	s_cbranch_execz .LBB9_469
.LBB9_135:
	v_cmp_neq_f64_e32 vcc, 0, v[0:1]
	v_cndmask_b32_e64 v2, 0, 1, vcc
	global_store_byte v[4:5], v2, off
	s_or_b64 exec, exec, s[8:9]
	s_and_saveexec_b64 s[8:9], s[6:7]
	s_xor_b64 s[6:7], exec, s[8:9]
	s_cbranch_execz .LBB9_507
	s_branch .LBB9_470
.LBB9_136:
	s_mov_b64 s[6:7], 0
	s_mov_b64 s[4:5], s[48:49]
	s_cbranch_execnz .LBB9_216
.LBB9_137:
	s_andn2_b64 vcc, exec, s[6:7]
	s_cbranch_vccnz .LBB9_254
.LBB9_138:
	v_add_u32_e32 v37, 0x80, v37
	s_mov_b64 s[6:7], -1
	s_branch .LBB9_255
.LBB9_139:
	s_mov_b64 s[8:9], -1
	s_mov_b64 s[6:7], 0
	s_mov_b64 s[4:5], s[48:49]
	s_branch .LBB9_174
.LBB9_140:
	s_mov_b64 s[8:9], -1
	s_mov_b64 s[6:7], 0
	s_mov_b64 s[4:5], s[48:49]
	s_branch .LBB9_157
.LBB9_141:
	s_or_saveexec_b64 s[10:11], s[10:11]
                                        ; implicit-def: $sgpr12
	s_xor_b64 exec, exec, s[10:11]
	s_cbranch_execz .LBB9_37
.LBB9_142:
	s_mov_b32 s12, 0x46000000
	v_add_f32_e64 v3, |v2|, s12
	v_and_b32_e32 v3, 0xff, v3
	v_cmp_ne_u32_e32 vcc, 0, v3
	s_andn2_b64 s[8:9], s[8:9], exec
	s_and_b64 s[14:15], vcc, exec
	s_mov_b32 s12, 0
	s_or_b64 s[8:9], s[8:9], s[14:15]
	s_or_b64 exec, exec, s[10:11]
	v_mov_b32_e32 v6, s12
	s_and_saveexec_b64 s[10:11], s[8:9]
	s_cbranch_execnz .LBB9_38
	s_branch .LBB9_39
.LBB9_143:
	s_mov_b64 s[8:9], -1
	s_mov_b64 s[6:7], 0
	s_mov_b64 s[4:5], s[48:49]
	s_branch .LBB9_153
.LBB9_144:
	s_or_saveexec_b64 s[10:11], s[10:11]
                                        ; implicit-def: $sgpr12
	s_xor_b64 exec, exec, s[10:11]
	s_cbranch_execz .LBB9_49
.LBB9_145:
	s_mov_b32 s12, 0x42800000
	v_add_f32_e64 v3, |v2|, s12
	v_and_b32_e32 v3, 0xff, v3
	v_cmp_ne_u32_e32 vcc, 0, v3
	s_andn2_b64 s[8:9], s[8:9], exec
	s_and_b64 s[14:15], vcc, exec
	s_mov_b32 s12, 0
	s_or_b64 s[8:9], s[8:9], s[14:15]
	s_or_b64 exec, exec, s[10:11]
	v_mov_b32_e32 v6, s12
	s_and_saveexec_b64 s[10:11], s[8:9]
	s_cbranch_execnz .LBB9_50
	s_branch .LBB9_51
.LBB9_146:
	s_mov_b64 s[8:9], -1
	s_mov_b64 s[6:7], 0
	s_mov_b64 s[4:5], s[48:49]
.LBB9_147:
	s_and_b64 vcc, exec, s[8:9]
	s_cbranch_vccz .LBB9_152
; %bb.148:
	v_mov_b32_e32 v2, 44
	v_cmp_eq_u16_sdwa s[8:9], v46, v2 src0_sel:BYTE_0 src1_sel:DWORD
	s_mov_b64 s[4:5], -1
	s_and_b64 vcc, exec, s[8:9]
	s_cbranch_vccz .LBB9_152
; %bb.149:
	v_cvt_f32_f64_e32 v2, v[0:1]
	v_bfe_u32 v3, v2, 23, 8
	s_movk_i32 s4, 0xff
	v_cmp_ne_u32_e32 vcc, s4, v3
	v_mov_b32_e32 v6, 0xff
	s_and_saveexec_b64 s[6:7], vcc
; %bb.150:
	s_mov_b32 s4, 0x3fffff
	v_lshrrev_b32_e32 v6, 23, v2
	v_and_b32_e32 v7, 0x400000, v2
	v_and_or_b32 v2, v2, s4, v3
	v_cmp_ne_u32_e32 vcc, 0, v7
	v_cmp_ne_u32_e64 s[4:5], 0, v2
	s_and_b64 s[4:5], vcc, s[4:5]
	v_cndmask_b32_e64 v2, 0, 1, s[4:5]
	v_add_u32_e32 v6, v6, v2
; %bb.151:
	s_or_b64 exec, exec, s[6:7]
	s_mov_b64 s[6:7], -1
	s_mov_b64 s[4:5], 0
	global_store_byte v[4:5], v6, off
.LBB9_152:
	s_mov_b64 s[8:9], 0
.LBB9_153:
	s_and_b64 vcc, exec, s[8:9]
	s_cbranch_vccz .LBB9_156
; %bb.154:
	v_mov_b32_e32 v2, 29
	v_cmp_eq_u16_sdwa s[8:9], v46, v2 src0_sel:BYTE_0 src1_sel:DWORD
	s_mov_b64 s[4:5], -1
	s_and_b64 vcc, exec, s[8:9]
	s_cbranch_vccz .LBB9_156
; %bb.155:
	v_trunc_f64_e32 v[2:3], v[0:1]
	s_movk_i32 s4, 0xffe0
	v_ldexp_f64 v[6:7], v[2:3], s4
	v_floor_f64_e32 v[6:7], v[6:7]
	v_fmac_f64_e32 v[2:3], 0xc1f00000, v[6:7]
	v_cvt_u32_f64_e32 v9, v[6:7]
	v_cvt_u32_f64_e32 v8, v[2:3]
	global_store_dwordx2 v[4:5], v[8:9], off
	s_mov_b64 s[6:7], -1
	s_mov_b64 s[4:5], 0
.LBB9_156:
	s_mov_b64 s[8:9], 0
.LBB9_157:
	s_and_b64 vcc, exec, s[8:9]
	s_cbranch_vccz .LBB9_173
; %bb.158:
	v_mov_b32_e32 v2, 27
	v_cmp_lt_i16_sdwa s[8:9], v46, v2 src0_sel:BYTE_0 src1_sel:DWORD
	s_mov_b64 s[6:7], -1
	s_and_b64 vcc, exec, s[8:9]
	s_cbranch_vccnz .LBB9_164
; %bb.159:
	v_cmp_gt_i16_sdwa s[8:9], v46, v2 src0_sel:BYTE_0 src1_sel:DWORD
	s_and_b64 vcc, exec, s[8:9]
	v_cvt_u32_f64_e32 v2, v[0:1]
	s_cbranch_vccz .LBB9_161
; %bb.160:
	s_mov_b64 s[6:7], 0
	global_store_dword v[4:5], v2, off
.LBB9_161:
	s_andn2_b64 vcc, exec, s[6:7]
	s_cbranch_vccnz .LBB9_163
; %bb.162:
	global_store_short v[4:5], v2, off
.LBB9_163:
	s_mov_b64 s[6:7], 0
.LBB9_164:
	s_andn2_b64 vcc, exec, s[6:7]
	s_cbranch_vccnz .LBB9_172
; %bb.165:
	v_cvt_f32_f64_e32 v2, v[0:1]
	v_and_b32_e32 v3, 0x7fffffff, v2
	s_mov_b32 s6, 0x43800000
	v_cmp_gt_u32_e32 vcc, s6, v3
	v_mov_b32_e32 v6, 0x80
	s_and_saveexec_b64 s[6:7], vcc
	s_cbranch_execz .LBB9_171
; %bb.166:
	s_mov_b32 s8, 0x3bffffff
	v_cmp_lt_u32_e32 vcc, s8, v3
	s_mov_b64 s[8:9], 0
                                        ; implicit-def: $vgpr3
	s_and_saveexec_b64 s[10:11], vcc
	s_xor_b64 s[10:11], exec, s[10:11]
	s_cbranch_execz .LBB9_268
; %bb.167:
	v_bfe_u32 v3, v2, 20, 1
	s_mov_b32 s12, 0x487ffff
	v_add3_u32 v3, v2, v3, s12
	s_mov_b64 s[8:9], exec
	v_lshrrev_b32_e32 v3, 20, v3
	s_or_saveexec_b64 s[10:11], s[10:11]
                                        ; implicit-def: $sgpr12
	s_xor_b64 exec, exec, s[10:11]
	s_cbranch_execnz .LBB9_269
.LBB9_168:
	s_or_b64 exec, exec, s[10:11]
	v_mov_b32_e32 v6, s12
	s_and_saveexec_b64 s[10:11], s[8:9]
.LBB9_169:
	v_lshrrev_b32_e32 v2, 24, v2
	s_movk_i32 s8, 0x80
	v_and_or_b32 v6, v2, s8, v3
.LBB9_170:
	s_or_b64 exec, exec, s[10:11]
.LBB9_171:
	s_or_b64 exec, exec, s[6:7]
	global_store_byte v[4:5], v6, off
.LBB9_172:
	s_mov_b64 s[6:7], -1
.LBB9_173:
	s_mov_b64 s[8:9], 0
.LBB9_174:
	s_and_b64 vcc, exec, s[8:9]
	s_cbranch_vccz .LBB9_215
; %bb.175:
	v_mov_b32_e32 v2, 22
	v_cmp_gt_i16_sdwa s[10:11], v46, v2 src0_sel:BYTE_0 src1_sel:DWORD
	s_mov_b64 s[8:9], -1
	s_and_b64 vcc, exec, s[10:11]
	s_cbranch_vccz .LBB9_207
; %bb.176:
	v_mov_b32_e32 v2, 24
	v_cmp_lt_i16_sdwa s[8:9], v46, v2 src0_sel:BYTE_0 src1_sel:DWORD
	s_mov_b64 s[6:7], -1
	s_and_b64 vcc, exec, s[8:9]
	s_cbranch_vccnz .LBB9_196
; %bb.177:
	v_cmp_gt_i16_sdwa s[8:9], v46, v2 src0_sel:BYTE_0 src1_sel:DWORD
	s_and_b64 vcc, exec, s[8:9]
	s_cbranch_vccz .LBB9_185
; %bb.178:
	v_cvt_f32_f64_e32 v2, v[0:1]
	v_and_b32_e32 v3, 0x7fffffff, v2
	s_mov_b32 s6, 0x47800000
	v_cmp_gt_u32_e32 vcc, s6, v3
	v_mov_b32_e32 v6, 0x80
	s_and_saveexec_b64 s[6:7], vcc
	s_cbranch_execz .LBB9_184
; %bb.179:
	s_mov_b32 s8, 0x37ffffff
	v_cmp_lt_u32_e32 vcc, s8, v3
	s_mov_b64 s[8:9], 0
                                        ; implicit-def: $vgpr3
	s_and_saveexec_b64 s[10:11], vcc
	s_xor_b64 s[10:11], exec, s[10:11]
	s_cbranch_execz .LBB9_271
; %bb.180:
	v_bfe_u32 v3, v2, 21, 1
	s_mov_b32 s12, 0x88fffff
	v_add3_u32 v3, v2, v3, s12
	s_mov_b64 s[8:9], exec
	v_lshrrev_b32_e32 v3, 21, v3
	s_or_saveexec_b64 s[10:11], s[10:11]
                                        ; implicit-def: $sgpr12
	s_xor_b64 exec, exec, s[10:11]
	s_cbranch_execnz .LBB9_272
.LBB9_181:
	s_or_b64 exec, exec, s[10:11]
	v_mov_b32_e32 v6, s12
	s_and_saveexec_b64 s[10:11], s[8:9]
.LBB9_182:
	v_lshrrev_b32_e32 v2, 24, v2
	s_movk_i32 s8, 0x80
	v_and_or_b32 v6, v2, s8, v3
.LBB9_183:
	s_or_b64 exec, exec, s[10:11]
.LBB9_184:
	s_or_b64 exec, exec, s[6:7]
	s_mov_b64 s[6:7], 0
	global_store_byte v[4:5], v6, off
.LBB9_185:
	s_and_b64 vcc, exec, s[6:7]
	s_cbranch_vccz .LBB9_195
; %bb.186:
	v_cvt_f32_f64_e32 v2, v[0:1]
	v_and_b32_e32 v6, 0x7fffffff, v2
	s_mov_b32 s6, 0x43f00000
	v_cmp_gt_u32_e32 vcc, s6, v6
                                        ; implicit-def: $vgpr3
	s_and_saveexec_b64 s[6:7], vcc
	s_xor_b64 s[6:7], exec, s[6:7]
	s_cbranch_execz .LBB9_192
; %bb.187:
	s_mov_b32 s8, 0x3c7fffff
	v_cmp_lt_u32_e32 vcc, s8, v6
                                        ; implicit-def: $vgpr3
	s_and_saveexec_b64 s[8:9], vcc
	s_xor_b64 s[8:9], exec, s[8:9]
; %bb.188:
	v_bfe_u32 v3, v2, 20, 1
	s_mov_b32 s10, 0x407ffff
	v_add3_u32 v3, v2, v3, s10
	v_lshrrev_b32_e32 v6, 20, v3
	v_and_b32_e32 v3, 0xff00000, v3
	s_mov_b32 s10, 0x7f00000
	v_mov_b32_e32 v7, 0x7e
	v_cmp_ne_u32_e32 vcc, s10, v3
	v_cndmask_b32_e32 v3, v7, v6, vcc
; %bb.189:
	s_andn2_saveexec_b64 s[8:9], s[8:9]
; %bb.190:
	s_mov_b32 s10, 0x46800000
	v_add_f32_e64 v3, |v2|, s10
; %bb.191:
	s_or_b64 exec, exec, s[8:9]
                                        ; implicit-def: $vgpr6
.LBB9_192:
	s_andn2_saveexec_b64 s[6:7], s[6:7]
; %bb.193:
	s_mov_b32 s8, 0x7f800000
	v_mov_b32_e32 v3, 0x7e
	v_mov_b32_e32 v7, 0x7f
	v_cmp_lt_u32_e32 vcc, s8, v6
	v_cndmask_b32_e32 v3, v3, v7, vcc
; %bb.194:
	s_or_b64 exec, exec, s[6:7]
	v_lshrrev_b32_e32 v2, 24, v2
	s_movk_i32 s6, 0x80
	v_and_or_b32 v2, v2, s6, v3
	global_store_byte v[4:5], v2, off
.LBB9_195:
	s_mov_b64 s[6:7], 0
.LBB9_196:
	s_andn2_b64 vcc, exec, s[6:7]
	s_cbranch_vccnz .LBB9_206
; %bb.197:
	v_cvt_f32_f64_e32 v2, v[0:1]
	v_and_b32_e32 v6, 0x7fffffff, v2
	s_mov_b32 s6, 0x47800000
	v_cmp_gt_u32_e32 vcc, s6, v6
                                        ; implicit-def: $vgpr3
	s_and_saveexec_b64 s[6:7], vcc
	s_xor_b64 s[6:7], exec, s[6:7]
	s_cbranch_execz .LBB9_203
; %bb.198:
	s_mov_b32 s8, 0x387fffff
	v_cmp_lt_u32_e32 vcc, s8, v6
                                        ; implicit-def: $vgpr3
	s_and_saveexec_b64 s[8:9], vcc
	s_xor_b64 s[8:9], exec, s[8:9]
; %bb.199:
	v_bfe_u32 v3, v2, 21, 1
	s_mov_b32 s10, 0x80fffff
	v_add3_u32 v3, v2, v3, s10
	v_lshrrev_b32_e32 v3, 21, v3
; %bb.200:
	s_andn2_saveexec_b64 s[8:9], s[8:9]
; %bb.201:
	s_mov_b32 s10, 0x43000000
	v_add_f32_e64 v3, |v2|, s10
; %bb.202:
	s_or_b64 exec, exec, s[8:9]
                                        ; implicit-def: $vgpr6
.LBB9_203:
	s_andn2_saveexec_b64 s[6:7], s[6:7]
; %bb.204:
	s_mov_b32 s8, 0x7f800000
	v_mov_b32_e32 v3, 0x7c
	v_mov_b32_e32 v7, 0x7f
	v_cmp_lt_u32_e32 vcc, s8, v6
	v_cndmask_b32_e32 v3, v3, v7, vcc
; %bb.205:
	s_or_b64 exec, exec, s[6:7]
	v_lshrrev_b32_e32 v2, 24, v2
	s_movk_i32 s6, 0x80
	v_and_or_b32 v2, v2, s6, v3
	global_store_byte v[4:5], v2, off
.LBB9_206:
	s_mov_b64 s[8:9], 0
	s_mov_b64 s[6:7], -1
.LBB9_207:
	s_andn2_b64 vcc, exec, s[8:9]
	s_cbranch_vccnz .LBB9_215
; %bb.208:
	v_mov_b32_e32 v2, 14
	v_cmp_gt_i16_sdwa s[10:11], v46, v2 src0_sel:BYTE_0 src1_sel:DWORD
	s_mov_b64 s[8:9], -1
	s_and_b64 vcc, exec, s[10:11]
	s_cbranch_vccz .LBB9_212
; %bb.209:
	v_mov_b32_e32 v2, 15
	v_cmp_eq_u16_sdwa s[8:9], v46, v2 src0_sel:BYTE_0 src1_sel:DWORD
	s_mov_b64 s[4:5], -1
	s_and_b64 vcc, exec, s[8:9]
	s_cbranch_vccz .LBB9_211
; %bb.210:
	v_cvt_f32_f64_e32 v2, v[0:1]
	v_bfe_u32 v3, v2, 16, 1
	s_movk_i32 s4, 0x7fff
	v_add3_u32 v3, v2, v3, s4
	v_lshrrev_b32_e32 v3, 16, v3
	v_mov_b32_e32 v6, 0x7fc0
	v_cmp_o_f32_e32 vcc, v2, v2
	v_cndmask_b32_e32 v2, v6, v3, vcc
	global_store_short v[4:5], v2, off
	s_mov_b64 s[6:7], -1
	s_mov_b64 s[4:5], 0
.LBB9_211:
	s_mov_b64 s[8:9], 0
.LBB9_212:
	s_and_b64 vcc, exec, s[8:9]
	s_cbranch_vccz .LBB9_215
; %bb.213:
	v_mov_b32_e32 v2, 11
	v_cmp_eq_u16_sdwa s[8:9], v46, v2 src0_sel:BYTE_0 src1_sel:DWORD
	s_mov_b64 s[4:5], -1
	s_and_b64 vcc, exec, s[8:9]
	s_cbranch_vccz .LBB9_215
; %bb.214:
	v_cmp_neq_f64_e32 vcc, 0, v[0:1]
	s_mov_b64 s[4:5], 0
	v_cndmask_b32_e64 v2, 0, 1, vcc
	s_mov_b64 s[6:7], -1
	global_store_byte v[4:5], v2, off
.LBB9_215:
	s_branch .LBB9_137
.LBB9_216:
	v_mov_b32_e32 v2, 5
	v_cmp_lt_i16_sdwa s[8:9], v46, v2 src0_sel:BYTE_0 src1_sel:DWORD
	s_mov_b64 s[6:7], -1
	s_and_b64 vcc, exec, s[8:9]
	s_cbranch_vccnz .LBB9_237
; %bb.217:
	v_mov_b32_e32 v2, 8
	v_cmp_lt_i16_sdwa s[8:9], v46, v2 src0_sel:BYTE_0 src1_sel:DWORD
	s_and_b64 vcc, exec, s[8:9]
	s_cbranch_vccnz .LBB9_227
; %bb.218:
	v_mov_b32_e32 v2, 9
	v_cmp_lt_i16_sdwa s[8:9], v46, v2 src0_sel:BYTE_0 src1_sel:DWORD
	s_and_b64 vcc, exec, s[8:9]
	s_cbranch_vccnz .LBB9_224
; %bb.219:
	v_cmp_gt_i16_sdwa s[8:9], v46, v2 src0_sel:BYTE_0 src1_sel:DWORD
	s_and_b64 vcc, exec, s[8:9]
	s_cbranch_vccz .LBB9_221
; %bb.220:
	v_mov_b32_e32 v2, 0
	v_mov_b32_e32 v3, v2
	s_mov_b64 s[6:7], 0
	global_store_dwordx4 v[4:5], v[0:3], off
.LBB9_221:
	s_andn2_b64 vcc, exec, s[6:7]
	s_cbranch_vccnz .LBB9_223
; %bb.222:
	v_cvt_f32_f64_e32 v2, v[0:1]
	v_mov_b32_e32 v3, 0
	global_store_dwordx2 v[4:5], v[2:3], off
.LBB9_223:
	s_mov_b64 s[6:7], 0
.LBB9_224:
	s_andn2_b64 vcc, exec, s[6:7]
	s_cbranch_vccnz .LBB9_226
; %bb.225:
	v_cvt_f32_f64_e32 v2, v[0:1]
	v_cvt_f16_f32_e32 v2, v2
	global_store_dword v[4:5], v2, off
.LBB9_226:
	s_mov_b64 s[6:7], 0
.LBB9_227:
	s_andn2_b64 vcc, exec, s[6:7]
	s_cbranch_vccnz .LBB9_236
; %bb.228:
	v_mov_b32_e32 v2, 6
	v_cmp_lt_i16_sdwa s[8:9], v46, v2 src0_sel:BYTE_0 src1_sel:DWORD
	s_mov_b64 s[6:7], -1
	s_and_b64 vcc, exec, s[8:9]
	s_cbranch_vccnz .LBB9_234
; %bb.229:
	v_cmp_gt_i16_sdwa s[8:9], v46, v2 src0_sel:BYTE_0 src1_sel:DWORD
	s_and_b64 vcc, exec, s[8:9]
	s_cbranch_vccz .LBB9_231
; %bb.230:
	s_mov_b64 s[6:7], 0
	global_store_dwordx2 v[4:5], v[0:1], off
.LBB9_231:
	s_andn2_b64 vcc, exec, s[6:7]
	s_cbranch_vccnz .LBB9_233
; %bb.232:
	v_cvt_f32_f64_e32 v2, v[0:1]
	global_store_dword v[4:5], v2, off
.LBB9_233:
	s_mov_b64 s[6:7], 0
.LBB9_234:
	s_andn2_b64 vcc, exec, s[6:7]
	s_cbranch_vccnz .LBB9_236
; %bb.235:
	v_cvt_f32_f64_e32 v2, v[0:1]
	v_cvt_f16_f32_e32 v2, v2
	global_store_short v[4:5], v2, off
.LBB9_236:
	s_mov_b64 s[6:7], 0
.LBB9_237:
	s_andn2_b64 vcc, exec, s[6:7]
	s_cbranch_vccnz .LBB9_253
; %bb.238:
	v_mov_b32_e32 v2, 2
	v_cmp_lt_i16_sdwa s[8:9], v46, v2 src0_sel:BYTE_0 src1_sel:DWORD
	s_mov_b64 s[6:7], -1
	s_and_b64 vcc, exec, s[8:9]
	s_cbranch_vccnz .LBB9_248
; %bb.239:
	v_mov_b32_e32 v2, 3
	v_cmp_lt_i16_sdwa s[8:9], v46, v2 src0_sel:BYTE_0 src1_sel:DWORD
	s_and_b64 vcc, exec, s[8:9]
	s_cbranch_vccnz .LBB9_245
; %bb.240:
	v_cmp_gt_i16_sdwa s[8:9], v46, v2 src0_sel:BYTE_0 src1_sel:DWORD
	s_and_b64 vcc, exec, s[8:9]
	s_cbranch_vccz .LBB9_242
; %bb.241:
	v_trunc_f64_e32 v[2:3], v[0:1]
	s_movk_i32 s6, 0xffe0
	v_ldexp_f64 v[6:7], v[2:3], s6
	v_floor_f64_e32 v[6:7], v[6:7]
	v_fmac_f64_e32 v[2:3], 0xc1f00000, v[6:7]
	v_cvt_i32_f64_e32 v9, v[6:7]
	v_cvt_u32_f64_e32 v8, v[2:3]
	s_mov_b64 s[6:7], 0
	global_store_dwordx2 v[4:5], v[8:9], off
.LBB9_242:
	s_andn2_b64 vcc, exec, s[6:7]
	s_cbranch_vccnz .LBB9_244
; %bb.243:
	v_cvt_i32_f64_e32 v2, v[0:1]
	global_store_dword v[4:5], v2, off
.LBB9_244:
	s_mov_b64 s[6:7], 0
.LBB9_245:
	s_andn2_b64 vcc, exec, s[6:7]
	s_cbranch_vccnz .LBB9_247
; %bb.246:
	v_cvt_i32_f64_e32 v2, v[0:1]
	global_store_short v[4:5], v2, off
.LBB9_247:
	s_mov_b64 s[6:7], 0
.LBB9_248:
	s_andn2_b64 vcc, exec, s[6:7]
	s_cbranch_vccnz .LBB9_253
; %bb.249:
	v_mov_b32_e32 v2, 0
	v_cmp_gt_i16_sdwa s[8:9], v46, v2 src0_sel:BYTE_0 src1_sel:DWORD
	s_mov_b64 s[6:7], -1
	s_and_b64 vcc, exec, s[8:9]
	s_cbranch_vccz .LBB9_251
; %bb.250:
	v_cvt_i32_f64_e32 v2, v[0:1]
	s_mov_b64 s[6:7], 0
	global_store_byte v[4:5], v2, off
.LBB9_251:
	s_andn2_b64 vcc, exec, s[6:7]
	s_cbranch_vccnz .LBB9_253
; %bb.252:
	v_trunc_f64_e32 v[0:1], v[0:1]
	s_movk_i32 s6, 0xffe0
	v_ldexp_f64 v[2:3], v[0:1], s6
	v_floor_f64_e32 v[2:3], v[2:3]
	v_fmac_f64_e32 v[0:1], 0xc1f00000, v[2:3]
	v_cvt_u32_f64_e32 v0, v[0:1]
	global_store_byte v[4:5], v0, off
.LBB9_253:
	s_branch .LBB9_138
.LBB9_254:
	s_mov_b64 s[6:7], 0
                                        ; implicit-def: $vgpr37
.LBB9_255:
	s_andn2_b64 s[8:9], s[48:49], exec
	s_and_b64 s[4:5], s[4:5], exec
	s_or_b64 s[52:53], s[8:9], s[4:5]
	s_orn2_b64 s[8:9], s[6:7], exec
.LBB9_256:
	s_or_b64 exec, exec, s[54:55]
	s_mov_b64 s[4:5], 0
	s_mov_b64 s[6:7], 0
                                        ; implicit-def: $vgpr6
                                        ; implicit-def: $vgpr4_vgpr5
                                        ; implicit-def: $vgpr0_vgpr1
	s_and_saveexec_b64 s[54:55], s[8:9]
	s_cbranch_execz .LBB9_467
; %bb.257:
	v_cmp_gt_i32_e32 vcc, s33, v37
	s_mov_b64 s[6:7], -1
	s_mov_b64 s[58:59], s[52:53]
	s_and_saveexec_b64 s[56:57], vcc
	s_cbranch_execz .LBB9_386
; %bb.258:
	v_mov_b32_e32 v0, s42
	v_mov_b32_e32 v1, s43
	;; [unrolled: 1-line block ×5, first 2 shown]
	s_getpc_b64 s[4:5]
	s_add_u32 s4, s4, _ZN2at6native6invokeIZZZNS0_12_GLOBAL__N_119airy_ai_kernel_cudaERNS_18TensorIteratorBaseEENKUlvE_clEvENKUlvE_clEvEUldE_i15function_traitsIS7_EEENT1_11result_typeERKT_PrKPcPKT0_PKN3c1010ScalarTypeEi@rel32@lo+4
	s_addc_u32 s5, s5, _ZN2at6native6invokeIZZZNS0_12_GLOBAL__N_119airy_ai_kernel_cudaERNS_18TensorIteratorBaseEENKUlvE_clEvENKUlvE_clEvEUldE_i15function_traitsIS7_EEENT1_11result_typeERKT_PrKPcPKT0_PKN3c1010ScalarTypeEi@rel32@hi+12
	s_swappc_b64 s[30:31], s[4:5]
	v_mul_lo_u32 v2, v37, s38
	v_ashrrev_i32_e32 v3, 31, v2
	v_mov_b32_e32 v5, s41
	v_add_co_u32_e32 v4, vcc, s40, v2
	v_mov_b32_e32 v2, 11
	v_addc_co_u32_e32 v5, vcc, v5, v3, vcc
	v_cmp_lt_i16_sdwa s[4:5], v46, v2 src0_sel:BYTE_0 src1_sel:DWORD
	s_and_b64 vcc, exec, s[4:5]
	s_cbranch_vccnz .LBB9_265
; %bb.259:
	v_mov_b32_e32 v2, 25
	v_cmp_gt_i16_sdwa s[4:5], v46, v2 src0_sel:BYTE_0 src1_sel:DWORD
	s_and_b64 vcc, exec, s[4:5]
	s_cbranch_vccz .LBB9_266
; %bb.260:
	v_mov_b32_e32 v2, 28
	v_cmp_gt_i16_sdwa s[4:5], v46, v2 src0_sel:BYTE_0 src1_sel:DWORD
	s_and_b64 vcc, exec, s[4:5]
	s_cbranch_vccz .LBB9_267
	;; [unrolled: 5-line block ×4, first 2 shown]
; %bb.263:
	v_mov_b32_e32 v2, 46
	v_cmp_eq_u16_sdwa s[6:7], v46, v2 src0_sel:BYTE_0 src1_sel:DWORD
	s_mov_b64 s[8:9], 0
	s_mov_b64 s[4:5], -1
	s_and_b64 vcc, exec, s[6:7]
	s_mov_b64 s[6:7], 0
	s_cbranch_vccz .LBB9_274
; %bb.264:
	v_cvt_f32_f64_e32 v2, v[0:1]
	v_bfe_u32 v3, v2, 16, 1
	s_movk_i32 s4, 0x7fff
	v_add3_u32 v3, v2, v3, s4
	v_lshrrev_b32_e32 v3, 16, v3
	v_mov_b32_e32 v6, 0x7fc0
	v_cmp_o_f32_e32 vcc, v2, v2
	v_cndmask_b32_e32 v2, v6, v3, vcc
	global_store_dword v[4:5], v2, off
	s_mov_b64 s[6:7], -1
	s_mov_b64 s[4:5], 0
	s_branch .LBB9_274
.LBB9_265:
	s_mov_b64 s[8:9], -1
	s_mov_b64 s[6:7], 0
	s_mov_b64 s[4:5], s[52:53]
	s_branch .LBB9_343
.LBB9_266:
	s_mov_b64 s[8:9], -1
	s_mov_b64 s[6:7], 0
	s_mov_b64 s[4:5], s[52:53]
	s_branch .LBB9_301
.LBB9_267:
	s_mov_b64 s[8:9], -1
	s_mov_b64 s[6:7], 0
	s_mov_b64 s[4:5], s[52:53]
	s_branch .LBB9_284
.LBB9_268:
	s_or_saveexec_b64 s[10:11], s[10:11]
                                        ; implicit-def: $sgpr12
	s_xor_b64 exec, exec, s[10:11]
	s_cbranch_execz .LBB9_168
.LBB9_269:
	s_mov_b32 s12, 0x46000000
	v_add_f32_e64 v3, |v2|, s12
	v_and_b32_e32 v3, 0xff, v3
	v_cmp_ne_u32_e32 vcc, 0, v3
	s_andn2_b64 s[8:9], s[8:9], exec
	s_and_b64 s[14:15], vcc, exec
	s_mov_b32 s12, 0
	s_or_b64 s[8:9], s[8:9], s[14:15]
	s_or_b64 exec, exec, s[10:11]
	v_mov_b32_e32 v6, s12
	s_and_saveexec_b64 s[10:11], s[8:9]
	s_cbranch_execnz .LBB9_169
	s_branch .LBB9_170
.LBB9_270:
	s_mov_b64 s[8:9], -1
	s_mov_b64 s[6:7], 0
	s_mov_b64 s[4:5], s[52:53]
	s_branch .LBB9_280
.LBB9_271:
	s_or_saveexec_b64 s[10:11], s[10:11]
                                        ; implicit-def: $sgpr12
	s_xor_b64 exec, exec, s[10:11]
	s_cbranch_execz .LBB9_181
.LBB9_272:
	s_mov_b32 s12, 0x42800000
	v_add_f32_e64 v3, |v2|, s12
	v_and_b32_e32 v3, 0xff, v3
	v_cmp_ne_u32_e32 vcc, 0, v3
	s_andn2_b64 s[8:9], s[8:9], exec
	s_and_b64 s[14:15], vcc, exec
	s_mov_b32 s12, 0
	s_or_b64 s[8:9], s[8:9], s[14:15]
	s_or_b64 exec, exec, s[10:11]
	v_mov_b32_e32 v6, s12
	s_and_saveexec_b64 s[10:11], s[8:9]
	s_cbranch_execnz .LBB9_182
	s_branch .LBB9_183
.LBB9_273:
	s_mov_b64 s[8:9], -1
	s_mov_b64 s[6:7], 0
	s_mov_b64 s[4:5], s[52:53]
.LBB9_274:
	s_and_b64 vcc, exec, s[8:9]
	s_cbranch_vccz .LBB9_279
; %bb.275:
	v_mov_b32_e32 v2, 44
	v_cmp_eq_u16_sdwa s[8:9], v46, v2 src0_sel:BYTE_0 src1_sel:DWORD
	s_mov_b64 s[4:5], -1
	s_and_b64 vcc, exec, s[8:9]
	s_cbranch_vccz .LBB9_279
; %bb.276:
	v_cvt_f32_f64_e32 v2, v[0:1]
	v_bfe_u32 v3, v2, 23, 8
	s_movk_i32 s4, 0xff
	v_cmp_ne_u32_e32 vcc, s4, v3
	v_mov_b32_e32 v6, 0xff
	s_and_saveexec_b64 s[6:7], vcc
; %bb.277:
	s_mov_b32 s4, 0x3fffff
	v_lshrrev_b32_e32 v6, 23, v2
	v_and_b32_e32 v7, 0x400000, v2
	v_and_or_b32 v2, v2, s4, v3
	v_cmp_ne_u32_e32 vcc, 0, v7
	v_cmp_ne_u32_e64 s[4:5], 0, v2
	s_and_b64 s[4:5], vcc, s[4:5]
	v_cndmask_b32_e64 v2, 0, 1, s[4:5]
	v_add_u32_e32 v6, v6, v2
; %bb.278:
	s_or_b64 exec, exec, s[6:7]
	s_mov_b64 s[6:7], -1
	s_mov_b64 s[4:5], 0
	global_store_byte v[4:5], v6, off
.LBB9_279:
	s_mov_b64 s[8:9], 0
.LBB9_280:
	s_and_b64 vcc, exec, s[8:9]
	s_cbranch_vccz .LBB9_283
; %bb.281:
	v_mov_b32_e32 v2, 29
	v_cmp_eq_u16_sdwa s[8:9], v46, v2 src0_sel:BYTE_0 src1_sel:DWORD
	s_mov_b64 s[4:5], -1
	s_and_b64 vcc, exec, s[8:9]
	s_cbranch_vccz .LBB9_283
; %bb.282:
	v_trunc_f64_e32 v[2:3], v[0:1]
	s_movk_i32 s4, 0xffe0
	v_ldexp_f64 v[6:7], v[2:3], s4
	v_floor_f64_e32 v[6:7], v[6:7]
	v_fmac_f64_e32 v[2:3], 0xc1f00000, v[6:7]
	v_cvt_u32_f64_e32 v9, v[6:7]
	v_cvt_u32_f64_e32 v8, v[2:3]
	global_store_dwordx2 v[4:5], v[8:9], off
	s_mov_b64 s[6:7], -1
	s_mov_b64 s[4:5], 0
.LBB9_283:
	s_mov_b64 s[8:9], 0
.LBB9_284:
	s_and_b64 vcc, exec, s[8:9]
	s_cbranch_vccz .LBB9_300
; %bb.285:
	v_mov_b32_e32 v2, 27
	v_cmp_lt_i16_sdwa s[8:9], v46, v2 src0_sel:BYTE_0 src1_sel:DWORD
	s_mov_b64 s[6:7], -1
	s_and_b64 vcc, exec, s[8:9]
	s_cbranch_vccnz .LBB9_291
; %bb.286:
	v_cmp_gt_i16_sdwa s[8:9], v46, v2 src0_sel:BYTE_0 src1_sel:DWORD
	s_and_b64 vcc, exec, s[8:9]
	v_cvt_u32_f64_e32 v2, v[0:1]
	s_cbranch_vccz .LBB9_288
; %bb.287:
	s_mov_b64 s[6:7], 0
	global_store_dword v[4:5], v2, off
.LBB9_288:
	s_andn2_b64 vcc, exec, s[6:7]
	s_cbranch_vccnz .LBB9_290
; %bb.289:
	global_store_short v[4:5], v2, off
.LBB9_290:
	s_mov_b64 s[6:7], 0
.LBB9_291:
	s_andn2_b64 vcc, exec, s[6:7]
	s_cbranch_vccnz .LBB9_299
; %bb.292:
	v_cvt_f32_f64_e32 v2, v[0:1]
	v_and_b32_e32 v3, 0x7fffffff, v2
	s_mov_b32 s6, 0x43800000
	v_cmp_gt_u32_e32 vcc, s6, v3
	v_mov_b32_e32 v6, 0x80
	s_and_saveexec_b64 s[6:7], vcc
	s_cbranch_execz .LBB9_298
; %bb.293:
	s_mov_b32 s8, 0x3bffffff
	v_cmp_lt_u32_e32 vcc, s8, v3
	s_mov_b64 s[8:9], 0
                                        ; implicit-def: $vgpr3
	s_and_saveexec_b64 s[10:11], vcc
	s_xor_b64 s[10:11], exec, s[10:11]
	s_cbranch_execz .LBB9_1005
; %bb.294:
	v_bfe_u32 v3, v2, 20, 1
	s_mov_b32 s12, 0x487ffff
	v_add3_u32 v3, v2, v3, s12
	s_mov_b64 s[8:9], exec
	v_lshrrev_b32_e32 v3, 20, v3
	s_or_saveexec_b64 s[10:11], s[10:11]
                                        ; implicit-def: $sgpr12
	s_xor_b64 exec, exec, s[10:11]
	s_cbranch_execnz .LBB9_1006
.LBB9_295:
	s_or_b64 exec, exec, s[10:11]
	v_mov_b32_e32 v6, s12
	s_and_saveexec_b64 s[10:11], s[8:9]
.LBB9_296:
	v_lshrrev_b32_e32 v2, 24, v2
	s_movk_i32 s8, 0x80
	v_and_or_b32 v6, v2, s8, v3
.LBB9_297:
	s_or_b64 exec, exec, s[10:11]
.LBB9_298:
	s_or_b64 exec, exec, s[6:7]
	global_store_byte v[4:5], v6, off
.LBB9_299:
	s_mov_b64 s[6:7], -1
.LBB9_300:
	s_mov_b64 s[8:9], 0
.LBB9_301:
	s_and_b64 vcc, exec, s[8:9]
	s_cbranch_vccz .LBB9_342
; %bb.302:
	v_mov_b32_e32 v2, 22
	v_cmp_gt_i16_sdwa s[10:11], v46, v2 src0_sel:BYTE_0 src1_sel:DWORD
	s_mov_b64 s[8:9], -1
	s_and_b64 vcc, exec, s[10:11]
	s_cbranch_vccz .LBB9_334
; %bb.303:
	v_mov_b32_e32 v2, 24
	v_cmp_lt_i16_sdwa s[8:9], v46, v2 src0_sel:BYTE_0 src1_sel:DWORD
	s_mov_b64 s[6:7], -1
	s_and_b64 vcc, exec, s[8:9]
	s_cbranch_vccnz .LBB9_323
; %bb.304:
	v_cmp_gt_i16_sdwa s[8:9], v46, v2 src0_sel:BYTE_0 src1_sel:DWORD
	s_and_b64 vcc, exec, s[8:9]
	s_cbranch_vccz .LBB9_312
; %bb.305:
	v_cvt_f32_f64_e32 v2, v[0:1]
	v_and_b32_e32 v3, 0x7fffffff, v2
	s_mov_b32 s6, 0x47800000
	v_cmp_gt_u32_e32 vcc, s6, v3
	v_mov_b32_e32 v6, 0x80
	s_and_saveexec_b64 s[6:7], vcc
	s_cbranch_execz .LBB9_311
; %bb.306:
	s_mov_b32 s8, 0x37ffffff
	v_cmp_lt_u32_e32 vcc, s8, v3
	s_mov_b64 s[8:9], 0
                                        ; implicit-def: $vgpr3
	s_and_saveexec_b64 s[10:11], vcc
	s_xor_b64 s[10:11], exec, s[10:11]
	s_cbranch_execz .LBB9_1012
; %bb.307:
	v_bfe_u32 v3, v2, 21, 1
	s_mov_b32 s12, 0x88fffff
	v_add3_u32 v3, v2, v3, s12
	s_mov_b64 s[8:9], exec
	v_lshrrev_b32_e32 v3, 21, v3
	s_or_saveexec_b64 s[10:11], s[10:11]
                                        ; implicit-def: $sgpr12
	s_xor_b64 exec, exec, s[10:11]
	s_cbranch_execnz .LBB9_1013
.LBB9_308:
	s_or_b64 exec, exec, s[10:11]
	v_mov_b32_e32 v6, s12
	s_and_saveexec_b64 s[10:11], s[8:9]
.LBB9_309:
	v_lshrrev_b32_e32 v2, 24, v2
	s_movk_i32 s8, 0x80
	v_and_or_b32 v6, v2, s8, v3
.LBB9_310:
	s_or_b64 exec, exec, s[10:11]
.LBB9_311:
	s_or_b64 exec, exec, s[6:7]
	s_mov_b64 s[6:7], 0
	global_store_byte v[4:5], v6, off
.LBB9_312:
	s_and_b64 vcc, exec, s[6:7]
	s_cbranch_vccz .LBB9_322
; %bb.313:
	v_cvt_f32_f64_e32 v2, v[0:1]
	v_and_b32_e32 v6, 0x7fffffff, v2
	s_mov_b32 s6, 0x43f00000
	v_cmp_gt_u32_e32 vcc, s6, v6
                                        ; implicit-def: $vgpr3
	s_and_saveexec_b64 s[6:7], vcc
	s_xor_b64 s[6:7], exec, s[6:7]
	s_cbranch_execz .LBB9_319
; %bb.314:
	s_mov_b32 s8, 0x3c7fffff
	v_cmp_lt_u32_e32 vcc, s8, v6
                                        ; implicit-def: $vgpr3
	s_and_saveexec_b64 s[8:9], vcc
	s_xor_b64 s[8:9], exec, s[8:9]
; %bb.315:
	v_bfe_u32 v3, v2, 20, 1
	s_mov_b32 s10, 0x407ffff
	v_add3_u32 v3, v2, v3, s10
	v_lshrrev_b32_e32 v6, 20, v3
	v_and_b32_e32 v3, 0xff00000, v3
	s_mov_b32 s10, 0x7f00000
	v_mov_b32_e32 v7, 0x7e
	v_cmp_ne_u32_e32 vcc, s10, v3
	v_cndmask_b32_e32 v3, v7, v6, vcc
; %bb.316:
	s_andn2_saveexec_b64 s[8:9], s[8:9]
; %bb.317:
	s_mov_b32 s10, 0x46800000
	v_add_f32_e64 v3, |v2|, s10
; %bb.318:
	s_or_b64 exec, exec, s[8:9]
                                        ; implicit-def: $vgpr6
.LBB9_319:
	s_andn2_saveexec_b64 s[6:7], s[6:7]
; %bb.320:
	s_mov_b32 s8, 0x7f800000
	v_mov_b32_e32 v3, 0x7e
	v_mov_b32_e32 v7, 0x7f
	v_cmp_lt_u32_e32 vcc, s8, v6
	v_cndmask_b32_e32 v3, v3, v7, vcc
; %bb.321:
	s_or_b64 exec, exec, s[6:7]
	v_lshrrev_b32_e32 v2, 24, v2
	s_movk_i32 s6, 0x80
	v_and_or_b32 v2, v2, s6, v3
	global_store_byte v[4:5], v2, off
.LBB9_322:
	s_mov_b64 s[6:7], 0
.LBB9_323:
	s_andn2_b64 vcc, exec, s[6:7]
	s_cbranch_vccnz .LBB9_333
; %bb.324:
	v_cvt_f32_f64_e32 v2, v[0:1]
	v_and_b32_e32 v6, 0x7fffffff, v2
	s_mov_b32 s6, 0x47800000
	v_cmp_gt_u32_e32 vcc, s6, v6
                                        ; implicit-def: $vgpr3
	s_and_saveexec_b64 s[6:7], vcc
	s_xor_b64 s[6:7], exec, s[6:7]
	s_cbranch_execz .LBB9_330
; %bb.325:
	s_mov_b32 s8, 0x387fffff
	v_cmp_lt_u32_e32 vcc, s8, v6
                                        ; implicit-def: $vgpr3
	s_and_saveexec_b64 s[8:9], vcc
	s_xor_b64 s[8:9], exec, s[8:9]
; %bb.326:
	v_bfe_u32 v3, v2, 21, 1
	s_mov_b32 s10, 0x80fffff
	v_add3_u32 v3, v2, v3, s10
	v_lshrrev_b32_e32 v3, 21, v3
; %bb.327:
	s_andn2_saveexec_b64 s[8:9], s[8:9]
; %bb.328:
	s_mov_b32 s10, 0x43000000
	v_add_f32_e64 v3, |v2|, s10
; %bb.329:
	s_or_b64 exec, exec, s[8:9]
                                        ; implicit-def: $vgpr6
.LBB9_330:
	s_andn2_saveexec_b64 s[6:7], s[6:7]
; %bb.331:
	s_mov_b32 s8, 0x7f800000
	v_mov_b32_e32 v3, 0x7c
	v_mov_b32_e32 v7, 0x7f
	v_cmp_lt_u32_e32 vcc, s8, v6
	v_cndmask_b32_e32 v3, v3, v7, vcc
; %bb.332:
	s_or_b64 exec, exec, s[6:7]
	v_lshrrev_b32_e32 v2, 24, v2
	s_movk_i32 s6, 0x80
	v_and_or_b32 v2, v2, s6, v3
	global_store_byte v[4:5], v2, off
.LBB9_333:
	s_mov_b64 s[8:9], 0
	s_mov_b64 s[6:7], -1
.LBB9_334:
	s_andn2_b64 vcc, exec, s[8:9]
	s_cbranch_vccnz .LBB9_342
; %bb.335:
	v_mov_b32_e32 v2, 14
	v_cmp_gt_i16_sdwa s[10:11], v46, v2 src0_sel:BYTE_0 src1_sel:DWORD
	s_mov_b64 s[8:9], -1
	s_and_b64 vcc, exec, s[10:11]
	s_cbranch_vccz .LBB9_339
; %bb.336:
	v_mov_b32_e32 v2, 15
	v_cmp_eq_u16_sdwa s[8:9], v46, v2 src0_sel:BYTE_0 src1_sel:DWORD
	s_mov_b64 s[4:5], -1
	s_and_b64 vcc, exec, s[8:9]
	s_cbranch_vccz .LBB9_338
; %bb.337:
	v_cvt_f32_f64_e32 v2, v[0:1]
	v_bfe_u32 v3, v2, 16, 1
	s_movk_i32 s4, 0x7fff
	v_add3_u32 v3, v2, v3, s4
	v_lshrrev_b32_e32 v3, 16, v3
	v_mov_b32_e32 v6, 0x7fc0
	v_cmp_o_f32_e32 vcc, v2, v2
	v_cndmask_b32_e32 v2, v6, v3, vcc
	global_store_short v[4:5], v2, off
	s_mov_b64 s[6:7], -1
	s_mov_b64 s[4:5], 0
.LBB9_338:
	s_mov_b64 s[8:9], 0
.LBB9_339:
	s_and_b64 vcc, exec, s[8:9]
	s_cbranch_vccz .LBB9_342
; %bb.340:
	v_mov_b32_e32 v2, 11
	v_cmp_eq_u16_sdwa s[8:9], v46, v2 src0_sel:BYTE_0 src1_sel:DWORD
	s_mov_b64 s[4:5], -1
	s_and_b64 vcc, exec, s[8:9]
	s_cbranch_vccz .LBB9_342
; %bb.341:
	v_cmp_neq_f64_e32 vcc, 0, v[0:1]
	s_mov_b64 s[4:5], 0
	v_cndmask_b32_e64 v2, 0, 1, vcc
	s_mov_b64 s[6:7], -1
	global_store_byte v[4:5], v2, off
.LBB9_342:
	s_mov_b64 s[8:9], 0
.LBB9_343:
	s_and_b64 vcc, exec, s[8:9]
	s_cbranch_vccz .LBB9_382
; %bb.344:
	v_mov_b32_e32 v2, 5
	v_cmp_lt_i16_sdwa s[8:9], v46, v2 src0_sel:BYTE_0 src1_sel:DWORD
	s_mov_b64 s[6:7], -1
	s_and_b64 vcc, exec, s[8:9]
	s_cbranch_vccnz .LBB9_365
; %bb.345:
	v_mov_b32_e32 v2, 8
	v_cmp_lt_i16_sdwa s[8:9], v46, v2 src0_sel:BYTE_0 src1_sel:DWORD
	s_and_b64 vcc, exec, s[8:9]
	s_cbranch_vccnz .LBB9_355
; %bb.346:
	v_mov_b32_e32 v2, 9
	v_cmp_lt_i16_sdwa s[8:9], v46, v2 src0_sel:BYTE_0 src1_sel:DWORD
	s_and_b64 vcc, exec, s[8:9]
	s_cbranch_vccnz .LBB9_352
; %bb.347:
	v_cmp_gt_i16_sdwa s[8:9], v46, v2 src0_sel:BYTE_0 src1_sel:DWORD
	s_and_b64 vcc, exec, s[8:9]
	s_cbranch_vccz .LBB9_349
; %bb.348:
	v_mov_b32_e32 v2, 0
	v_mov_b32_e32 v3, v2
	s_mov_b64 s[6:7], 0
	global_store_dwordx4 v[4:5], v[0:3], off
.LBB9_349:
	s_andn2_b64 vcc, exec, s[6:7]
	s_cbranch_vccnz .LBB9_351
; %bb.350:
	v_cvt_f32_f64_e32 v2, v[0:1]
	v_mov_b32_e32 v3, 0
	global_store_dwordx2 v[4:5], v[2:3], off
.LBB9_351:
	s_mov_b64 s[6:7], 0
.LBB9_352:
	s_andn2_b64 vcc, exec, s[6:7]
	s_cbranch_vccnz .LBB9_354
; %bb.353:
	v_cvt_f32_f64_e32 v2, v[0:1]
	v_cvt_f16_f32_e32 v2, v2
	global_store_dword v[4:5], v2, off
.LBB9_354:
	s_mov_b64 s[6:7], 0
.LBB9_355:
	s_andn2_b64 vcc, exec, s[6:7]
	s_cbranch_vccnz .LBB9_364
; %bb.356:
	v_mov_b32_e32 v2, 6
	v_cmp_lt_i16_sdwa s[8:9], v46, v2 src0_sel:BYTE_0 src1_sel:DWORD
	s_mov_b64 s[6:7], -1
	s_and_b64 vcc, exec, s[8:9]
	s_cbranch_vccnz .LBB9_362
; %bb.357:
	v_cmp_gt_i16_sdwa s[8:9], v46, v2 src0_sel:BYTE_0 src1_sel:DWORD
	s_and_b64 vcc, exec, s[8:9]
	s_cbranch_vccz .LBB9_359
; %bb.358:
	s_mov_b64 s[6:7], 0
	global_store_dwordx2 v[4:5], v[0:1], off
.LBB9_359:
	s_andn2_b64 vcc, exec, s[6:7]
	s_cbranch_vccnz .LBB9_361
; %bb.360:
	v_cvt_f32_f64_e32 v2, v[0:1]
	global_store_dword v[4:5], v2, off
.LBB9_361:
	s_mov_b64 s[6:7], 0
.LBB9_362:
	s_andn2_b64 vcc, exec, s[6:7]
	s_cbranch_vccnz .LBB9_364
; %bb.363:
	v_cvt_f32_f64_e32 v2, v[0:1]
	v_cvt_f16_f32_e32 v2, v2
	global_store_short v[4:5], v2, off
.LBB9_364:
	s_mov_b64 s[6:7], 0
.LBB9_365:
	s_andn2_b64 vcc, exec, s[6:7]
	s_cbranch_vccnz .LBB9_381
; %bb.366:
	v_mov_b32_e32 v2, 2
	v_cmp_lt_i16_sdwa s[8:9], v46, v2 src0_sel:BYTE_0 src1_sel:DWORD
	s_mov_b64 s[6:7], -1
	s_and_b64 vcc, exec, s[8:9]
	s_cbranch_vccnz .LBB9_376
; %bb.367:
	v_mov_b32_e32 v2, 3
	v_cmp_lt_i16_sdwa s[8:9], v46, v2 src0_sel:BYTE_0 src1_sel:DWORD
	s_and_b64 vcc, exec, s[8:9]
	s_cbranch_vccnz .LBB9_373
; %bb.368:
	v_cmp_gt_i16_sdwa s[8:9], v46, v2 src0_sel:BYTE_0 src1_sel:DWORD
	s_and_b64 vcc, exec, s[8:9]
	s_cbranch_vccz .LBB9_370
; %bb.369:
	v_trunc_f64_e32 v[2:3], v[0:1]
	s_movk_i32 s6, 0xffe0
	v_ldexp_f64 v[6:7], v[2:3], s6
	v_floor_f64_e32 v[6:7], v[6:7]
	v_fmac_f64_e32 v[2:3], 0xc1f00000, v[6:7]
	v_cvt_i32_f64_e32 v9, v[6:7]
	v_cvt_u32_f64_e32 v8, v[2:3]
	s_mov_b64 s[6:7], 0
	global_store_dwordx2 v[4:5], v[8:9], off
.LBB9_370:
	s_andn2_b64 vcc, exec, s[6:7]
	s_cbranch_vccnz .LBB9_372
; %bb.371:
	v_cvt_i32_f64_e32 v2, v[0:1]
	global_store_dword v[4:5], v2, off
.LBB9_372:
	s_mov_b64 s[6:7], 0
.LBB9_373:
	s_andn2_b64 vcc, exec, s[6:7]
	s_cbranch_vccnz .LBB9_375
; %bb.374:
	v_cvt_i32_f64_e32 v2, v[0:1]
	global_store_short v[4:5], v2, off
.LBB9_375:
	s_mov_b64 s[6:7], 0
.LBB9_376:
	s_andn2_b64 vcc, exec, s[6:7]
	s_cbranch_vccnz .LBB9_381
; %bb.377:
	v_mov_b32_e32 v2, 0
	v_cmp_gt_i16_sdwa s[8:9], v46, v2 src0_sel:BYTE_0 src1_sel:DWORD
	s_mov_b64 s[6:7], -1
	s_and_b64 vcc, exec, s[8:9]
	s_cbranch_vccz .LBB9_379
; %bb.378:
	v_cvt_i32_f64_e32 v2, v[0:1]
	s_mov_b64 s[6:7], 0
	global_store_byte v[4:5], v2, off
.LBB9_379:
	s_andn2_b64 vcc, exec, s[6:7]
	s_cbranch_vccnz .LBB9_381
; %bb.380:
	v_trunc_f64_e32 v[0:1], v[0:1]
	s_movk_i32 s6, 0xffe0
	v_ldexp_f64 v[2:3], v[0:1], s6
	v_floor_f64_e32 v[2:3], v[2:3]
	v_fmac_f64_e32 v[0:1], 0xc1f00000, v[2:3]
	v_cvt_u32_f64_e32 v0, v[0:1]
	global_store_byte v[4:5], v0, off
.LBB9_381:
	s_mov_b64 s[6:7], -1
.LBB9_382:
	s_andn2_b64 vcc, exec, s[6:7]
	s_cbranch_vccnz .LBB9_384
; %bb.383:
	v_add_u32_e32 v37, 0x80, v37
	s_mov_b64 s[6:7], -1
	s_branch .LBB9_385
.LBB9_384:
	s_mov_b64 s[6:7], 0
                                        ; implicit-def: $vgpr37
.LBB9_385:
	s_andn2_b64 s[8:9], s[52:53], exec
	s_and_b64 s[4:5], s[4:5], exec
	s_or_b64 s[58:59], s[8:9], s[4:5]
	s_orn2_b64 s[6:7], s[6:7], exec
.LBB9_386:
	s_or_b64 exec, exec, s[56:57]
	s_mov_b64 s[4:5], 0
	s_mov_b64 s[10:11], 0
                                        ; implicit-def: $vgpr6
                                        ; implicit-def: $vgpr4_vgpr5
                                        ; implicit-def: $vgpr0_vgpr1
	s_and_saveexec_b64 s[56:57], s[6:7]
	s_cbranch_execz .LBB9_466
; %bb.387:
	v_cmp_gt_i32_e32 vcc, s33, v37
	s_mov_b64 s[6:7], 0
	s_mov_b64 s[8:9], s[58:59]
                                        ; implicit-def: $vgpr6
                                        ; implicit-def: $vgpr4_vgpr5
                                        ; implicit-def: $vgpr0_vgpr1
	s_and_saveexec_b64 s[60:61], vcc
	s_cbranch_execz .LBB9_465
; %bb.388:
	v_mov_b32_e32 v0, s42
	v_mov_b32_e32 v1, s43
	;; [unrolled: 1-line block ×5, first 2 shown]
	s_getpc_b64 s[4:5]
	s_add_u32 s4, s4, _ZN2at6native6invokeIZZZNS0_12_GLOBAL__N_119airy_ai_kernel_cudaERNS_18TensorIteratorBaseEENKUlvE_clEvENKUlvE_clEvEUldE_i15function_traitsIS7_EEENT1_11result_typeERKT_PrKPcPKT0_PKN3c1010ScalarTypeEi@rel32@lo+4
	s_addc_u32 s5, s5, _ZN2at6native6invokeIZZZNS0_12_GLOBAL__N_119airy_ai_kernel_cudaERNS_18TensorIteratorBaseEENKUlvE_clEvENKUlvE_clEvEUldE_i15function_traitsIS7_EEENT1_11result_typeERKT_PrKPcPKT0_PKN3c1010ScalarTypeEi@rel32@hi+12
	s_swappc_b64 s[30:31], s[4:5]
	v_mul_lo_u32 v2, v37, s38
	v_ashrrev_i32_e32 v3, 31, v2
	v_mov_b32_e32 v5, s41
	v_add_co_u32_e32 v4, vcc, s40, v2
	v_addc_co_u32_e32 v5, vcc, v5, v3, vcc
	v_and_b32_e32 v6, 0xff, v46
	v_cmp_gt_i16_e32 vcc, 11, v6
	s_cbranch_vccnz .LBB9_462
; %bb.389:
	v_cmp_lt_i16_e32 vcc, 25, v6
	s_mov_b64 s[8:9], -1
	s_mov_b64 s[4:5], s[58:59]
	s_cbranch_vccz .LBB9_422
; %bb.390:
	v_cmp_lt_i16_e32 vcc, 28, v6
	s_mov_b64 s[6:7], -1
	s_mov_b64 s[4:5], s[58:59]
	s_cbranch_vccz .LBB9_406
; %bb.391:
	v_cmp_lt_i16_e32 vcc, 43, v6
	s_mov_b64 s[4:5], s[58:59]
	s_cbranch_vccz .LBB9_402
; %bb.392:
	v_cmp_lt_i16_e32 vcc, 45, v6
	s_mov_b64 s[4:5], s[58:59]
	s_cbranch_vccz .LBB9_396
; %bb.393:
	v_cmp_eq_u16_e32 vcc, 46, v6
	s_mov_b64 s[4:5], -1
	s_cbranch_vccz .LBB9_395
; %bb.394:
	v_cvt_f32_f64_e32 v2, v[0:1]
	v_bfe_u32 v3, v2, 16, 1
	s_movk_i32 s4, 0x7fff
	v_add3_u32 v3, v2, v3, s4
	v_lshrrev_b32_e32 v3, 16, v3
	v_mov_b32_e32 v7, 0x7fc0
	v_cmp_o_f32_e32 vcc, v2, v2
	v_cndmask_b32_e32 v2, v7, v3, vcc
	global_store_dword v[4:5], v2, off
	s_mov_b64 s[4:5], 0
.LBB9_395:
	s_mov_b64 s[6:7], 0
.LBB9_396:
	s_and_b64 vcc, exec, s[6:7]
	s_cbranch_vccz .LBB9_401
; %bb.397:
	v_cmp_eq_u16_e32 vcc, 44, v6
	s_mov_b64 s[4:5], -1
	s_cbranch_vccz .LBB9_401
; %bb.398:
	v_cvt_f32_f64_e32 v2, v[0:1]
	v_bfe_u32 v3, v2, 23, 8
	s_movk_i32 s4, 0xff
	v_cmp_ne_u32_e32 vcc, s4, v3
	v_mov_b32_e32 v7, 0xff
	s_and_saveexec_b64 s[6:7], vcc
; %bb.399:
	s_mov_b32 s4, 0x3fffff
	v_lshrrev_b32_e32 v7, 23, v2
	v_and_b32_e32 v8, 0x400000, v2
	v_and_or_b32 v2, v2, s4, v3
	v_cmp_ne_u32_e32 vcc, 0, v8
	v_cmp_ne_u32_e64 s[4:5], 0, v2
	s_and_b64 s[4:5], vcc, s[4:5]
	v_cndmask_b32_e64 v2, 0, 1, s[4:5]
	v_add_u32_e32 v7, v7, v2
; %bb.400:
	s_or_b64 exec, exec, s[6:7]
	s_mov_b64 s[4:5], 0
	global_store_byte v[4:5], v7, off
.LBB9_401:
	s_mov_b64 s[6:7], 0
.LBB9_402:
	s_and_b64 vcc, exec, s[6:7]
	s_cbranch_vccz .LBB9_405
; %bb.403:
	v_cmp_eq_u16_e32 vcc, 29, v6
	s_mov_b64 s[4:5], -1
	s_cbranch_vccz .LBB9_405
; %bb.404:
	v_trunc_f64_e32 v[2:3], v[0:1]
	s_movk_i32 s4, 0xffe0
	v_ldexp_f64 v[8:9], v[2:3], s4
	v_floor_f64_e32 v[8:9], v[8:9]
	v_fmac_f64_e32 v[2:3], 0xc1f00000, v[8:9]
	v_cvt_u32_f64_e32 v11, v[8:9]
	v_cvt_u32_f64_e32 v10, v[2:3]
	global_store_dwordx2 v[4:5], v[10:11], off
	s_mov_b64 s[4:5], 0
.LBB9_405:
	s_mov_b64 s[6:7], 0
.LBB9_406:
	s_and_b64 vcc, exec, s[6:7]
	s_cbranch_vccz .LBB9_421
; %bb.407:
	v_cmp_gt_i16_e32 vcc, 27, v6
	s_mov_b64 s[6:7], -1
	s_cbranch_vccnz .LBB9_413
; %bb.408:
	v_cmp_lt_i16_e32 vcc, 27, v6
	v_cvt_u32_f64_e32 v2, v[0:1]
	s_cbranch_vccz .LBB9_410
; %bb.409:
	s_mov_b64 s[6:7], 0
	global_store_dword v[4:5], v2, off
.LBB9_410:
	s_andn2_b64 vcc, exec, s[6:7]
	s_cbranch_vccnz .LBB9_412
; %bb.411:
	global_store_short v[4:5], v2, off
.LBB9_412:
	s_mov_b64 s[6:7], 0
.LBB9_413:
	s_andn2_b64 vcc, exec, s[6:7]
	s_cbranch_vccnz .LBB9_421
; %bb.414:
	v_cvt_f32_f64_e32 v2, v[0:1]
	v_and_b32_e32 v3, 0x7fffffff, v2
	s_mov_b32 s6, 0x43800000
	v_cmp_gt_u32_e32 vcc, s6, v3
	v_mov_b32_e32 v7, 0x80
	s_and_saveexec_b64 s[6:7], vcc
	s_cbranch_execz .LBB9_420
; %bb.415:
	s_mov_b32 s8, 0x3bffffff
	v_cmp_lt_u32_e32 vcc, s8, v3
	s_mov_b64 s[8:9], 0
                                        ; implicit-def: $vgpr3
	s_and_saveexec_b64 s[10:11], vcc
	s_xor_b64 s[10:11], exec, s[10:11]
	s_cbranch_execz .LBB9_1014
; %bb.416:
	v_bfe_u32 v3, v2, 20, 1
	s_mov_b32 s12, 0x487ffff
	v_add3_u32 v3, v2, v3, s12
	s_mov_b64 s[8:9], exec
	v_lshrrev_b32_e32 v3, 20, v3
	s_or_saveexec_b64 s[10:11], s[10:11]
                                        ; implicit-def: $sgpr12
	s_xor_b64 exec, exec, s[10:11]
	s_cbranch_execnz .LBB9_1015
.LBB9_417:
	s_or_b64 exec, exec, s[10:11]
	v_mov_b32_e32 v7, s12
	s_and_saveexec_b64 s[10:11], s[8:9]
.LBB9_418:
	v_lshrrev_b32_e32 v2, 24, v2
	s_movk_i32 s8, 0x80
	v_and_or_b32 v7, v2, s8, v3
.LBB9_419:
	s_or_b64 exec, exec, s[10:11]
.LBB9_420:
	s_or_b64 exec, exec, s[6:7]
	global_store_byte v[4:5], v7, off
.LBB9_421:
	s_mov_b64 s[8:9], 0
.LBB9_422:
	s_mov_b64 s[6:7], 0
	s_and_b64 vcc, exec, s[8:9]
	s_cbranch_vccz .LBB9_463
; %bb.423:
	v_cmp_lt_i16_e32 vcc, 22, v6
	s_mov_b64 s[8:9], -1
	s_cbranch_vccz .LBB9_455
; %bb.424:
	v_cmp_gt_i16_e32 vcc, 24, v6
	s_cbranch_vccnz .LBB9_444
; %bb.425:
	v_cmp_lt_i16_e32 vcc, 24, v6
	s_cbranch_vccz .LBB9_433
; %bb.426:
	v_cvt_f32_f64_e32 v2, v[0:1]
	v_and_b32_e32 v3, 0x7fffffff, v2
	s_mov_b32 s8, 0x47800000
	v_cmp_gt_u32_e32 vcc, s8, v3
	v_mov_b32_e32 v7, 0x80
	s_and_saveexec_b64 s[8:9], vcc
	s_cbranch_execz .LBB9_432
; %bb.427:
	s_mov_b32 s10, 0x37ffffff
	v_cmp_lt_u32_e32 vcc, s10, v3
	s_mov_b64 s[10:11], 0
                                        ; implicit-def: $vgpr3
	s_and_saveexec_b64 s[12:13], vcc
	s_xor_b64 s[12:13], exec, s[12:13]
	s_cbranch_execz .LBB9_1018
; %bb.428:
	v_bfe_u32 v3, v2, 21, 1
	s_mov_b32 s14, 0x88fffff
	v_add3_u32 v3, v2, v3, s14
	s_mov_b64 s[10:11], exec
	v_lshrrev_b32_e32 v3, 21, v3
	s_or_saveexec_b64 s[12:13], s[12:13]
                                        ; implicit-def: $sgpr14
	s_xor_b64 exec, exec, s[12:13]
	s_cbranch_execnz .LBB9_1019
.LBB9_429:
	s_or_b64 exec, exec, s[12:13]
	v_mov_b32_e32 v7, s14
	s_and_saveexec_b64 s[12:13], s[10:11]
.LBB9_430:
	v_lshrrev_b32_e32 v2, 24, v2
	s_movk_i32 s10, 0x80
	v_and_or_b32 v7, v2, s10, v3
.LBB9_431:
	s_or_b64 exec, exec, s[12:13]
.LBB9_432:
	s_or_b64 exec, exec, s[8:9]
	s_mov_b64 s[8:9], 0
	global_store_byte v[4:5], v7, off
.LBB9_433:
	s_and_b64 vcc, exec, s[8:9]
	s_cbranch_vccz .LBB9_443
; %bb.434:
	v_cvt_f32_f64_e32 v2, v[0:1]
	v_and_b32_e32 v7, 0x7fffffff, v2
	s_mov_b32 s8, 0x43f00000
	v_cmp_gt_u32_e32 vcc, s8, v7
                                        ; implicit-def: $vgpr3
	s_and_saveexec_b64 s[8:9], vcc
	s_xor_b64 s[8:9], exec, s[8:9]
	s_cbranch_execz .LBB9_440
; %bb.435:
	s_mov_b32 s10, 0x3c7fffff
	v_cmp_lt_u32_e32 vcc, s10, v7
                                        ; implicit-def: $vgpr3
	s_and_saveexec_b64 s[10:11], vcc
	s_xor_b64 s[10:11], exec, s[10:11]
; %bb.436:
	v_bfe_u32 v3, v2, 20, 1
	s_mov_b32 s12, 0x407ffff
	v_add3_u32 v3, v2, v3, s12
	v_lshrrev_b32_e32 v7, 20, v3
	v_and_b32_e32 v3, 0xff00000, v3
	s_mov_b32 s12, 0x7f00000
	v_mov_b32_e32 v8, 0x7e
	v_cmp_ne_u32_e32 vcc, s12, v3
	v_cndmask_b32_e32 v3, v8, v7, vcc
; %bb.437:
	s_andn2_saveexec_b64 s[10:11], s[10:11]
; %bb.438:
	s_mov_b32 s12, 0x46800000
	v_add_f32_e64 v3, |v2|, s12
; %bb.439:
	s_or_b64 exec, exec, s[10:11]
                                        ; implicit-def: $vgpr7
.LBB9_440:
	s_andn2_saveexec_b64 s[8:9], s[8:9]
; %bb.441:
	s_mov_b32 s10, 0x7f800000
	v_mov_b32_e32 v3, 0x7e
	v_mov_b32_e32 v8, 0x7f
	v_cmp_lt_u32_e32 vcc, s10, v7
	v_cndmask_b32_e32 v3, v3, v8, vcc
; %bb.442:
	s_or_b64 exec, exec, s[8:9]
	v_lshrrev_b32_e32 v2, 24, v2
	s_movk_i32 s8, 0x80
	v_and_or_b32 v2, v2, s8, v3
	global_store_byte v[4:5], v2, off
.LBB9_443:
	s_mov_b64 s[8:9], 0
.LBB9_444:
	s_andn2_b64 vcc, exec, s[8:9]
	s_cbranch_vccnz .LBB9_454
; %bb.445:
	v_cvt_f32_f64_e32 v2, v[0:1]
	v_and_b32_e32 v7, 0x7fffffff, v2
	s_mov_b32 s8, 0x47800000
	v_cmp_gt_u32_e32 vcc, s8, v7
                                        ; implicit-def: $vgpr3
	s_and_saveexec_b64 s[8:9], vcc
	s_xor_b64 s[8:9], exec, s[8:9]
	s_cbranch_execz .LBB9_451
; %bb.446:
	s_mov_b32 s10, 0x387fffff
	v_cmp_lt_u32_e32 vcc, s10, v7
                                        ; implicit-def: $vgpr3
	s_and_saveexec_b64 s[10:11], vcc
	s_xor_b64 s[10:11], exec, s[10:11]
; %bb.447:
	v_bfe_u32 v3, v2, 21, 1
	s_mov_b32 s12, 0x80fffff
	v_add3_u32 v3, v2, v3, s12
	v_lshrrev_b32_e32 v3, 21, v3
; %bb.448:
	s_andn2_saveexec_b64 s[10:11], s[10:11]
; %bb.449:
	s_mov_b32 s12, 0x43000000
	v_add_f32_e64 v3, |v2|, s12
; %bb.450:
	s_or_b64 exec, exec, s[10:11]
                                        ; implicit-def: $vgpr7
.LBB9_451:
	s_andn2_saveexec_b64 s[8:9], s[8:9]
; %bb.452:
	s_mov_b32 s10, 0x7f800000
	v_mov_b32_e32 v3, 0x7c
	v_mov_b32_e32 v8, 0x7f
	v_cmp_lt_u32_e32 vcc, s10, v7
	v_cndmask_b32_e32 v3, v3, v8, vcc
; %bb.453:
	s_or_b64 exec, exec, s[8:9]
	v_lshrrev_b32_e32 v2, 24, v2
	s_movk_i32 s8, 0x80
	v_and_or_b32 v2, v2, s8, v3
	global_store_byte v[4:5], v2, off
.LBB9_454:
	s_mov_b64 s[8:9], 0
.LBB9_455:
	s_andn2_b64 vcc, exec, s[8:9]
	s_mov_b64 s[8:9], 0
	s_cbranch_vccnz .LBB9_464
; %bb.456:
	v_cmp_lt_i16_e32 vcc, 14, v6
	s_mov_b64 s[10:11], -1
	s_cbranch_vccz .LBB9_460
; %bb.457:
	v_cmp_eq_u16_e32 vcc, 15, v6
	s_mov_b64 s[4:5], -1
	s_cbranch_vccz .LBB9_459
; %bb.458:
	v_cvt_f32_f64_e32 v2, v[0:1]
	v_bfe_u32 v3, v2, 16, 1
	s_movk_i32 s4, 0x7fff
	v_add3_u32 v3, v2, v3, s4
	v_lshrrev_b32_e32 v3, 16, v3
	v_mov_b32_e32 v7, 0x7fc0
	v_cmp_o_f32_e32 vcc, v2, v2
	v_cndmask_b32_e32 v2, v7, v3, vcc
	global_store_short v[4:5], v2, off
	s_mov_b64 s[4:5], 0
.LBB9_459:
	s_mov_b64 s[10:11], 0
.LBB9_460:
	s_and_b64 vcc, exec, s[10:11]
	s_cbranch_vccz .LBB9_464
; %bb.461:
	v_cmp_ne_u16_e32 vcc, 11, v6
	s_andn2_b64 s[4:5], s[4:5], exec
	s_and_b64 s[10:11], vcc, exec
	s_mov_b64 s[8:9], -1
	s_or_b64 s[4:5], s[4:5], s[10:11]
	s_branch .LBB9_464
.LBB9_462:
	s_mov_b64 s[8:9], 0
	s_mov_b64 s[6:7], -1
	s_mov_b64 s[4:5], s[58:59]
	s_branch .LBB9_464
.LBB9_463:
	s_mov_b64 s[8:9], 0
.LBB9_464:
	s_and_b64 s[10:11], s[6:7], exec
	s_and_b64 s[6:7], s[8:9], exec
	s_andn2_b64 s[8:9], s[58:59], exec
	s_and_b64 s[4:5], s[4:5], exec
	s_or_b64 s[8:9], s[8:9], s[4:5]
.LBB9_465:
	s_or_b64 exec, exec, s[60:61]
	s_and_b64 s[4:5], s[6:7], exec
	s_andn2_b64 s[6:7], s[58:59], exec
	s_and_b64 s[8:9], s[8:9], exec
	s_and_b64 s[10:11], s[10:11], exec
	s_or_b64 s[58:59], s[6:7], s[8:9]
.LBB9_466:
	s_or_b64 exec, exec, s[56:57]
	s_and_b64 s[6:7], s[10:11], exec
	s_andn2_b64 s[8:9], s[52:53], exec
	s_and_b64 s[10:11], s[58:59], exec
	s_and_b64 s[4:5], s[4:5], exec
	s_or_b64 s[52:53], s[8:9], s[10:11]
.LBB9_467:
	s_or_b64 exec, exec, s[54:55]
	s_and_b64 s[54:55], s[4:5], exec
	s_andn2_b64 s[4:5], s[48:49], exec
	s_and_b64 s[8:9], s[52:53], exec
	s_and_b64 s[6:7], s[6:7], exec
	s_or_b64 s[48:49], s[4:5], s[8:9]
	s_or_b64 exec, exec, s[50:51]
	s_mov_b64 s[4:5], 0
	s_and_saveexec_b64 s[8:9], s[48:49]
	s_cbranch_execz .LBB9_134
.LBB9_468:
	s_mov_b64 s[4:5], exec
	s_andn2_b64 s[54:55], s[54:55], exec
	s_trap 2
	s_or_b64 exec, exec, s[8:9]
	s_and_saveexec_b64 s[8:9], s[54:55]
	s_xor_b64 s[8:9], exec, s[8:9]
	s_cbranch_execnz .LBB9_135
.LBB9_469:
	s_or_b64 exec, exec, s[8:9]
	s_and_saveexec_b64 s[8:9], s[6:7]
	s_xor_b64 s[6:7], exec, s[8:9]
	s_cbranch_execz .LBB9_507
.LBB9_470:
	v_cmp_gt_i16_e32 vcc, 5, v6
	s_mov_b64 s[8:9], -1
	s_cbranch_vccnz .LBB9_491
; %bb.471:
	v_cmp_gt_i16_e32 vcc, 8, v6
	s_cbranch_vccnz .LBB9_481
; %bb.472:
	v_cmp_gt_i16_e32 vcc, 9, v6
	s_cbranch_vccnz .LBB9_478
; %bb.473:
	v_cmp_lt_i16_e32 vcc, 9, v6
	s_cbranch_vccz .LBB9_475
; %bb.474:
	v_mov_b32_e32 v2, 0
	v_mov_b32_e32 v3, v2
	s_mov_b64 s[8:9], 0
	global_store_dwordx4 v[4:5], v[0:3], off
.LBB9_475:
	s_andn2_b64 vcc, exec, s[8:9]
	s_cbranch_vccnz .LBB9_477
; %bb.476:
	v_cvt_f32_f64_e32 v2, v[0:1]
	v_mov_b32_e32 v3, 0
	global_store_dwordx2 v[4:5], v[2:3], off
.LBB9_477:
	s_mov_b64 s[8:9], 0
.LBB9_478:
	s_andn2_b64 vcc, exec, s[8:9]
	s_cbranch_vccnz .LBB9_480
; %bb.479:
	v_cvt_f32_f64_e32 v2, v[0:1]
	v_cvt_f16_f32_e32 v2, v2
	global_store_dword v[4:5], v2, off
.LBB9_480:
	s_mov_b64 s[8:9], 0
.LBB9_481:
	s_andn2_b64 vcc, exec, s[8:9]
	s_cbranch_vccnz .LBB9_490
; %bb.482:
	v_cmp_gt_i16_e32 vcc, 6, v6
	s_mov_b64 s[8:9], -1
	s_cbranch_vccnz .LBB9_488
; %bb.483:
	v_cmp_lt_i16_e32 vcc, 6, v6
	s_cbranch_vccz .LBB9_485
; %bb.484:
	s_mov_b64 s[8:9], 0
	global_store_dwordx2 v[4:5], v[0:1], off
.LBB9_485:
	s_andn2_b64 vcc, exec, s[8:9]
	s_cbranch_vccnz .LBB9_487
; %bb.486:
	v_cvt_f32_f64_e32 v2, v[0:1]
	global_store_dword v[4:5], v2, off
.LBB9_487:
	s_mov_b64 s[8:9], 0
.LBB9_488:
	s_andn2_b64 vcc, exec, s[8:9]
	s_cbranch_vccnz .LBB9_490
; %bb.489:
	v_cvt_f32_f64_e32 v2, v[0:1]
	v_cvt_f16_f32_e32 v2, v2
	global_store_short v[4:5], v2, off
.LBB9_490:
	s_mov_b64 s[8:9], 0
.LBB9_491:
	s_andn2_b64 vcc, exec, s[8:9]
	s_cbranch_vccnz .LBB9_507
; %bb.492:
	v_cmp_gt_i16_e32 vcc, 2, v6
	s_mov_b64 s[8:9], -1
	s_cbranch_vccnz .LBB9_502
; %bb.493:
	v_cmp_gt_i16_e32 vcc, 3, v6
	s_cbranch_vccnz .LBB9_499
; %bb.494:
	v_cmp_lt_i16_e32 vcc, 3, v6
	s_cbranch_vccz .LBB9_496
; %bb.495:
	v_trunc_f64_e32 v[2:3], v[0:1]
	s_movk_i32 s8, 0xffe0
	v_ldexp_f64 v[8:9], v[2:3], s8
	v_floor_f64_e32 v[8:9], v[8:9]
	v_fmac_f64_e32 v[2:3], 0xc1f00000, v[8:9]
	v_cvt_i32_f64_e32 v11, v[8:9]
	v_cvt_u32_f64_e32 v10, v[2:3]
	s_mov_b64 s[8:9], 0
	global_store_dwordx2 v[4:5], v[10:11], off
.LBB9_496:
	s_andn2_b64 vcc, exec, s[8:9]
	s_cbranch_vccnz .LBB9_498
; %bb.497:
	v_cvt_i32_f64_e32 v2, v[0:1]
	global_store_dword v[4:5], v2, off
.LBB9_498:
	s_mov_b64 s[8:9], 0
.LBB9_499:
	s_andn2_b64 vcc, exec, s[8:9]
	s_cbranch_vccnz .LBB9_501
; %bb.500:
	v_cvt_i32_f64_e32 v2, v[0:1]
	global_store_short v[4:5], v2, off
.LBB9_501:
	s_mov_b64 s[8:9], 0
.LBB9_502:
	s_andn2_b64 vcc, exec, s[8:9]
	s_cbranch_vccnz .LBB9_507
; %bb.503:
	v_cmp_lt_i16_e32 vcc, 0, v6
	s_mov_b64 s[8:9], -1
	s_cbranch_vccz .LBB9_505
; %bb.504:
	v_cvt_i32_f64_e32 v2, v[0:1]
	s_mov_b64 s[8:9], 0
	global_store_byte v[4:5], v2, off
.LBB9_505:
	s_andn2_b64 vcc, exec, s[8:9]
	s_cbranch_vccnz .LBB9_507
; %bb.506:
	v_trunc_f64_e32 v[0:1], v[0:1]
	s_movk_i32 s8, 0xffe0
	v_ldexp_f64 v[2:3], v[0:1], s8
	v_floor_f64_e32 v[2:3], v[2:3]
	v_fmac_f64_e32 v[0:1], 0xc1f00000, v[2:3]
	v_cvt_u32_f64_e32 v0, v[0:1]
	global_store_byte v[4:5], v0, off
.LBB9_507:
	s_or_b64 exec, exec, s[6:7]
	s_and_b64 s[48:49], s[4:5], exec
                                        ; implicit-def: $vgpr46
                                        ; implicit-def: $vgpr37
                                        ; implicit-def: $vgpr44
                                        ; implicit-def: $vgpr45
.LBB9_508:
	s_or_saveexec_b64 s[46:47], s[46:47]
	s_mov_b64 s[4:5], 0
                                        ; implicit-def: $vgpr6
                                        ; implicit-def: $vgpr4_vgpr5
                                        ; implicit-def: $vgpr0_vgpr1
	s_xor_b64 exec, exec, s[46:47]
	s_cbranch_execz .LBB9_959
; %bb.509:
	v_mov_b32_e32 v0, s42
	v_mov_b32_e32 v1, s43
	;; [unrolled: 1-line block ×5, first 2 shown]
	v_add_u32_e32 v38, 0x80, v37
	v_add_u32_e32 v39, 0x100, v37
	s_getpc_b64 s[44:45]
	s_add_u32 s44, s44, _ZN2at6native6invokeIZZZNS0_12_GLOBAL__N_119airy_ai_kernel_cudaERNS_18TensorIteratorBaseEENKUlvE_clEvENKUlvE_clEvEUldE_i15function_traitsIS7_EEENT1_11result_typeERKT_PrKPcPKT0_PKN3c1010ScalarTypeEi@rel32@lo+4
	s_addc_u32 s45, s45, _ZN2at6native6invokeIZZZNS0_12_GLOBAL__N_119airy_ai_kernel_cudaERNS_18TensorIteratorBaseEENKUlvE_clEvENKUlvE_clEvEUldE_i15function_traitsIS7_EEENT1_11result_typeERKT_PrKPcPKT0_PKN3c1010ScalarTypeEi@rel32@hi+12
	s_swappc_b64 s[30:31], s[44:45]
	v_mov_b32_e32 v42, v0
	v_mov_b32_e32 v43, v1
	v_mov_b32_e32 v0, s42
	v_mov_b32_e32 v1, s43
	v_mov_b32_e32 v2, s39
	v_mov_b32_e32 v3, v44
	v_mov_b32_e32 v4, v38
	s_swappc_b64 s[30:31], s[44:45]
	v_mov_b32_e32 v40, v0
	v_mov_b32_e32 v41, v1
	v_mov_b32_e32 v0, s42
	v_mov_b32_e32 v1, s43
	v_mov_b32_e32 v2, s39
	v_mov_b32_e32 v3, v44
	v_mov_b32_e32 v4, v39
	;; [unrolled: 8-line block ×3, first 2 shown]
	s_swappc_b64 s[30:31], s[44:45]
	v_mul_lo_u32 v4, s38, v37
	v_ashrrev_i32_e32 v3, 31, v4
	v_mov_b32_e32 v5, s41
	v_add_co_u32_e32 v2, vcc, s40, v4
	v_addc_co_u32_e32 v3, vcc, v5, v3, vcc
	v_mov_b32_e32 v5, 11
	v_cmp_lt_i16_sdwa s[4:5], v46, v5 src0_sel:BYTE_0 src1_sel:DWORD
	s_and_b64 vcc, exec, s[4:5]
	s_cbranch_vccnz .LBB9_516
; %bb.510:
	v_mov_b32_e32 v5, 25
	v_cmp_gt_i16_sdwa s[4:5], v46, v5 src0_sel:BYTE_0 src1_sel:DWORD
	s_mov_b64 s[6:7], -1
	s_mov_b64 s[8:9], 0
	s_and_b64 vcc, exec, s[4:5]
	s_mov_b64 s[10:11], 0
	s_mov_b64 s[4:5], 0
	s_cbranch_vccz .LBB9_546
; %bb.511:
	v_mov_b32_e32 v5, 28
	v_cmp_gt_i16_sdwa s[4:5], v46, v5 src0_sel:BYTE_0 src1_sel:DWORD
	s_and_b64 vcc, exec, s[4:5]
	s_cbranch_vccz .LBB9_518
; %bb.512:
	v_mov_b32_e32 v5, 43
	v_cmp_gt_i16_sdwa s[4:5], v46, v5 src0_sel:BYTE_0 src1_sel:DWORD
	s_and_b64 vcc, exec, s[4:5]
	;; [unrolled: 5-line block ×3, first 2 shown]
	s_cbranch_vccz .LBB9_520
; %bb.514:
	v_mov_b32_e32 v5, 46
	v_cmp_eq_u16_sdwa s[10:11], v46, v5 src0_sel:BYTE_0 src1_sel:DWORD
	s_mov_b64 s[4:5], -1
	s_mov_b64 s[6:7], 0
	s_and_b64 vcc, exec, s[10:11]
	s_mov_b64 s[10:11], 0
	s_cbranch_vccz .LBB9_521
; %bb.515:
	v_cvt_f32_f64_e32 v5, v[42:43]
	v_bfe_u32 v6, v5, 16, 1
	s_movk_i32 s4, 0x7fff
	v_add3_u32 v6, v5, v6, s4
	v_lshrrev_b32_e32 v6, 16, v6
	v_mov_b32_e32 v7, 0x7fc0
	v_cmp_o_f32_e32 vcc, v5, v5
	v_cndmask_b32_e32 v5, v7, v6, vcc
	global_store_dword v[2:3], v5, off
	s_mov_b64 s[4:5], 0
	s_mov_b64 s[10:11], -1
	s_branch .LBB9_521
.LBB9_516:
	s_mov_b64 s[10:11], 0
	s_mov_b64 s[6:7], s[48:49]
	s_cbranch_execnz .LBB9_590
.LBB9_517:
	s_andn2_b64 vcc, exec, s[10:11]
	s_cbranch_vccz .LBB9_628
	s_branch .LBB9_957
.LBB9_518:
	s_mov_b64 s[4:5], 0
	s_and_b64 vcc, exec, s[6:7]
	s_cbranch_vccz .LBB9_545
	s_branch .LBB9_530
.LBB9_519:
	s_mov_b64 s[4:5], 0
	s_and_b64 vcc, exec, s[6:7]
	s_cbranch_vccnz .LBB9_527
	s_branch .LBB9_529
.LBB9_520:
	s_mov_b64 s[4:5], 0
.LBB9_521:
	s_and_b64 vcc, exec, s[6:7]
	s_cbranch_vccz .LBB9_526
; %bb.522:
	v_mov_b32_e32 v5, 44
	v_cmp_eq_u16_sdwa s[6:7], v46, v5 src0_sel:BYTE_0 src1_sel:DWORD
	s_mov_b64 s[4:5], -1
	s_and_b64 vcc, exec, s[6:7]
	s_cbranch_vccz .LBB9_526
; %bb.523:
	v_cvt_f32_f64_e32 v5, v[42:43]
	v_bfe_u32 v6, v5, 23, 8
	s_movk_i32 s4, 0xff
	v_cmp_ne_u32_e32 vcc, s4, v6
	v_mov_b32_e32 v7, 0xff
	s_and_saveexec_b64 s[6:7], vcc
; %bb.524:
	s_mov_b32 s4, 0x3fffff
	v_lshrrev_b32_e32 v7, 23, v5
	v_and_b32_e32 v8, 0x400000, v5
	v_and_or_b32 v5, v5, s4, v6
	v_cmp_ne_u32_e32 vcc, 0, v8
	v_cmp_ne_u32_e64 s[4:5], 0, v5
	s_and_b64 s[4:5], vcc, s[4:5]
	v_cndmask_b32_e64 v5, 0, 1, s[4:5]
	v_add_u32_e32 v7, v7, v5
; %bb.525:
	s_or_b64 exec, exec, s[6:7]
	s_mov_b64 s[4:5], 0
	s_mov_b64 s[10:11], -1
	global_store_byte v[2:3], v7, off
.LBB9_526:
	s_branch .LBB9_529
.LBB9_527:
	v_mov_b32_e32 v5, 29
	v_cmp_eq_u16_sdwa s[6:7], v46, v5 src0_sel:BYTE_0 src1_sel:DWORD
	s_mov_b64 s[4:5], -1
	s_and_b64 vcc, exec, s[6:7]
	s_cbranch_vccz .LBB9_529
; %bb.528:
	v_trunc_f64_e32 v[6:7], v[42:43]
	s_movk_i32 s4, 0xffe0
	v_ldexp_f64 v[8:9], v[6:7], s4
	v_floor_f64_e32 v[8:9], v[8:9]
	v_fmac_f64_e32 v[6:7], 0xc1f00000, v[8:9]
	v_cvt_u32_f64_e32 v11, v[8:9]
	v_cvt_u32_f64_e32 v10, v[6:7]
	global_store_dwordx2 v[2:3], v[10:11], off
	s_mov_b64 s[4:5], 0
	s_mov_b64 s[10:11], -1
.LBB9_529:
	s_branch .LBB9_545
.LBB9_530:
	v_mov_b32_e32 v5, 27
	v_cmp_lt_i16_sdwa s[10:11], v46, v5 src0_sel:BYTE_0 src1_sel:DWORD
	s_mov_b64 s[6:7], -1
	s_and_b64 vcc, exec, s[10:11]
	s_cbranch_vccnz .LBB9_536
; %bb.531:
	v_cmp_gt_i16_sdwa s[10:11], v46, v5 src0_sel:BYTE_0 src1_sel:DWORD
	s_and_b64 vcc, exec, s[10:11]
	v_cvt_u32_f64_e32 v5, v[42:43]
	s_cbranch_vccz .LBB9_533
; %bb.532:
	s_mov_b64 s[6:7], 0
	global_store_dword v[2:3], v5, off
.LBB9_533:
	s_andn2_b64 vcc, exec, s[6:7]
	s_cbranch_vccnz .LBB9_535
; %bb.534:
	global_store_short v[2:3], v5, off
.LBB9_535:
	s_mov_b64 s[6:7], 0
.LBB9_536:
	s_andn2_b64 vcc, exec, s[6:7]
	s_cbranch_vccnz .LBB9_544
; %bb.537:
	v_cvt_f32_f64_e32 v5, v[42:43]
	v_and_b32_e32 v6, 0x7fffffff, v5
	s_mov_b32 s6, 0x43800000
	v_cmp_gt_u32_e32 vcc, s6, v6
	v_mov_b32_e32 v7, 0x80
	s_and_saveexec_b64 s[6:7], vcc
	s_cbranch_execz .LBB9_543
; %bb.538:
	s_mov_b32 s10, 0x3bffffff
	v_cmp_lt_u32_e32 vcc, s10, v6
	s_mov_b64 s[10:11], 0
                                        ; implicit-def: $vgpr6
	s_and_saveexec_b64 s[12:13], vcc
	s_xor_b64 s[12:13], exec, s[12:13]
	s_cbranch_execz .LBB9_638
; %bb.539:
	v_bfe_u32 v6, v5, 20, 1
	s_mov_b32 s14, 0x487ffff
	v_add3_u32 v6, v5, v6, s14
	s_mov_b64 s[10:11], exec
	v_lshrrev_b32_e32 v6, 20, v6
	s_or_saveexec_b64 s[12:13], s[12:13]
                                        ; implicit-def: $sgpr14
	s_xor_b64 exec, exec, s[12:13]
	s_cbranch_execnz .LBB9_639
.LBB9_540:
	s_or_b64 exec, exec, s[12:13]
	v_mov_b32_e32 v7, s14
	s_and_saveexec_b64 s[12:13], s[10:11]
.LBB9_541:
	v_lshrrev_b32_e32 v5, 24, v5
	s_movk_i32 s10, 0x80
	v_and_or_b32 v7, v5, s10, v6
.LBB9_542:
	s_or_b64 exec, exec, s[12:13]
.LBB9_543:
	s_or_b64 exec, exec, s[6:7]
	global_store_byte v[2:3], v7, off
.LBB9_544:
	s_mov_b64 s[10:11], -1
.LBB9_545:
	s_mov_b64 s[6:7], 0
.LBB9_546:
	s_and_b64 vcc, exec, s[6:7]
	s_cbranch_vccz .LBB9_586
; %bb.547:
	v_mov_b32_e32 v5, 22
	v_cmp_gt_i16_sdwa s[8:9], v46, v5 src0_sel:BYTE_0 src1_sel:DWORD
	s_mov_b64 s[6:7], -1
	s_and_b64 vcc, exec, s[8:9]
	s_cbranch_vccz .LBB9_579
; %bb.548:
	v_mov_b32_e32 v5, 24
	v_cmp_lt_i16_sdwa s[8:9], v46, v5 src0_sel:BYTE_0 src1_sel:DWORD
	s_and_b64 vcc, exec, s[8:9]
	s_cbranch_vccnz .LBB9_568
; %bb.549:
	v_cmp_gt_i16_sdwa s[8:9], v46, v5 src0_sel:BYTE_0 src1_sel:DWORD
	s_and_b64 vcc, exec, s[8:9]
	s_cbranch_vccz .LBB9_557
; %bb.550:
	v_cvt_f32_f64_e32 v5, v[42:43]
	v_and_b32_e32 v6, 0x7fffffff, v5
	s_mov_b32 s6, 0x47800000
	v_cmp_gt_u32_e32 vcc, s6, v6
	v_mov_b32_e32 v7, 0x80
	s_and_saveexec_b64 s[6:7], vcc
	s_cbranch_execz .LBB9_556
; %bb.551:
	s_mov_b32 s8, 0x37ffffff
	v_cmp_lt_u32_e32 vcc, s8, v6
	s_mov_b64 s[8:9], 0
                                        ; implicit-def: $vgpr6
	s_and_saveexec_b64 s[10:11], vcc
	s_xor_b64 s[10:11], exec, s[10:11]
	s_cbranch_execz .LBB9_642
; %bb.552:
	v_bfe_u32 v6, v5, 21, 1
	s_mov_b32 s12, 0x88fffff
	v_add3_u32 v6, v5, v6, s12
	s_mov_b64 s[8:9], exec
	v_lshrrev_b32_e32 v6, 21, v6
	s_or_saveexec_b64 s[10:11], s[10:11]
                                        ; implicit-def: $sgpr12
	s_xor_b64 exec, exec, s[10:11]
	s_cbranch_execnz .LBB9_643
.LBB9_553:
	s_or_b64 exec, exec, s[10:11]
	v_mov_b32_e32 v7, s12
	s_and_saveexec_b64 s[10:11], s[8:9]
.LBB9_554:
	v_lshrrev_b32_e32 v5, 24, v5
	s_movk_i32 s8, 0x80
	v_and_or_b32 v7, v5, s8, v6
.LBB9_555:
	s_or_b64 exec, exec, s[10:11]
.LBB9_556:
	s_or_b64 exec, exec, s[6:7]
	s_mov_b64 s[6:7], 0
	global_store_byte v[2:3], v7, off
.LBB9_557:
	s_and_b64 vcc, exec, s[6:7]
	s_cbranch_vccz .LBB9_567
; %bb.558:
	v_cvt_f32_f64_e32 v5, v[42:43]
	v_and_b32_e32 v7, 0x7fffffff, v5
	s_mov_b32 s6, 0x43f00000
	v_cmp_gt_u32_e32 vcc, s6, v7
                                        ; implicit-def: $vgpr6
	s_and_saveexec_b64 s[6:7], vcc
	s_xor_b64 s[6:7], exec, s[6:7]
	s_cbranch_execz .LBB9_564
; %bb.559:
	s_mov_b32 s8, 0x3c7fffff
	v_cmp_lt_u32_e32 vcc, s8, v7
                                        ; implicit-def: $vgpr6
	s_and_saveexec_b64 s[8:9], vcc
	s_xor_b64 s[8:9], exec, s[8:9]
; %bb.560:
	v_bfe_u32 v6, v5, 20, 1
	s_mov_b32 s10, 0x407ffff
	v_add3_u32 v6, v5, v6, s10
	v_lshrrev_b32_e32 v7, 20, v6
	v_and_b32_e32 v6, 0xff00000, v6
	s_mov_b32 s10, 0x7f00000
	v_mov_b32_e32 v8, 0x7e
	v_cmp_ne_u32_e32 vcc, s10, v6
	v_cndmask_b32_e32 v6, v8, v7, vcc
; %bb.561:
	s_andn2_saveexec_b64 s[8:9], s[8:9]
; %bb.562:
	s_mov_b32 s10, 0x46800000
	v_add_f32_e64 v6, |v5|, s10
; %bb.563:
	s_or_b64 exec, exec, s[8:9]
                                        ; implicit-def: $vgpr7
.LBB9_564:
	s_andn2_saveexec_b64 s[6:7], s[6:7]
; %bb.565:
	s_mov_b32 s8, 0x7f800000
	v_mov_b32_e32 v6, 0x7e
	v_mov_b32_e32 v8, 0x7f
	v_cmp_lt_u32_e32 vcc, s8, v7
	v_cndmask_b32_e32 v6, v6, v8, vcc
; %bb.566:
	s_or_b64 exec, exec, s[6:7]
	v_lshrrev_b32_e32 v5, 24, v5
	s_movk_i32 s6, 0x80
	v_and_or_b32 v5, v5, s6, v6
	global_store_byte v[2:3], v5, off
.LBB9_567:
	s_mov_b64 s[6:7], 0
.LBB9_568:
	s_andn2_b64 vcc, exec, s[6:7]
	s_cbranch_vccnz .LBB9_578
; %bb.569:
	v_cvt_f32_f64_e32 v5, v[42:43]
	v_and_b32_e32 v7, 0x7fffffff, v5
	s_mov_b32 s6, 0x47800000
	v_cmp_gt_u32_e32 vcc, s6, v7
                                        ; implicit-def: $vgpr6
	s_and_saveexec_b64 s[6:7], vcc
	s_xor_b64 s[6:7], exec, s[6:7]
	s_cbranch_execz .LBB9_575
; %bb.570:
	s_mov_b32 s8, 0x387fffff
	v_cmp_lt_u32_e32 vcc, s8, v7
                                        ; implicit-def: $vgpr6
	s_and_saveexec_b64 s[8:9], vcc
	s_xor_b64 s[8:9], exec, s[8:9]
; %bb.571:
	v_bfe_u32 v6, v5, 21, 1
	s_mov_b32 s10, 0x80fffff
	v_add3_u32 v6, v5, v6, s10
	v_lshrrev_b32_e32 v6, 21, v6
; %bb.572:
	s_andn2_saveexec_b64 s[8:9], s[8:9]
; %bb.573:
	s_mov_b32 s10, 0x43000000
	v_add_f32_e64 v6, |v5|, s10
; %bb.574:
	s_or_b64 exec, exec, s[8:9]
                                        ; implicit-def: $vgpr7
.LBB9_575:
	s_andn2_saveexec_b64 s[6:7], s[6:7]
; %bb.576:
	s_mov_b32 s8, 0x7f800000
	v_mov_b32_e32 v6, 0x7c
	v_mov_b32_e32 v8, 0x7f
	v_cmp_lt_u32_e32 vcc, s8, v7
	v_cndmask_b32_e32 v6, v6, v8, vcc
; %bb.577:
	s_or_b64 exec, exec, s[6:7]
	v_lshrrev_b32_e32 v5, 24, v5
	s_movk_i32 s6, 0x80
	v_and_or_b32 v5, v5, s6, v6
	global_store_byte v[2:3], v5, off
.LBB9_578:
	s_mov_b64 s[6:7], 0
	s_mov_b64 s[10:11], -1
.LBB9_579:
	s_andn2_b64 vcc, exec, s[6:7]
	s_mov_b64 s[8:9], 0
	s_cbranch_vccnz .LBB9_586
; %bb.580:
	v_mov_b32_e32 v5, 14
	v_cmp_gt_i16_sdwa s[8:9], v46, v5 src0_sel:BYTE_0 src1_sel:DWORD
	s_mov_b64 s[6:7], -1
	s_and_b64 vcc, exec, s[8:9]
	s_cbranch_vccz .LBB9_584
; %bb.581:
	v_mov_b32_e32 v5, 15
	v_cmp_eq_u16_sdwa s[6:7], v46, v5 src0_sel:BYTE_0 src1_sel:DWORD
	s_mov_b64 s[4:5], -1
	s_and_b64 vcc, exec, s[6:7]
	s_cbranch_vccz .LBB9_583
; %bb.582:
	v_cvt_f32_f64_e32 v5, v[42:43]
	v_bfe_u32 v6, v5, 16, 1
	s_movk_i32 s4, 0x7fff
	v_add3_u32 v6, v5, v6, s4
	v_lshrrev_b32_e32 v6, 16, v6
	v_mov_b32_e32 v7, 0x7fc0
	v_cmp_o_f32_e32 vcc, v5, v5
	v_cndmask_b32_e32 v5, v7, v6, vcc
	global_store_short v[2:3], v5, off
	s_mov_b64 s[4:5], 0
	s_mov_b64 s[10:11], -1
.LBB9_583:
	s_mov_b64 s[6:7], 0
.LBB9_584:
	s_mov_b64 s[8:9], 0
	s_and_b64 vcc, exec, s[6:7]
	s_cbranch_vccz .LBB9_586
; %bb.585:
	v_mov_b32_e32 v5, 11
	v_cmp_ne_u16_sdwa s[4:5], v46, v5 src0_sel:BYTE_0 src1_sel:DWORD
	s_mov_b64 s[8:9], -1
.LBB9_586:
	s_and_b64 vcc, exec, s[4:5]
	s_mov_b64 s[6:7], s[48:49]
	s_cbranch_vccnz .LBB9_641
; %bb.587:
	s_andn2_b64 vcc, exec, s[8:9]
	s_cbranch_vccnz .LBB9_589
.LBB9_588:
	v_cmp_neq_f64_e32 vcc, 0, v[42:43]
	v_cndmask_b32_e64 v5, 0, 1, vcc
	global_store_byte v[2:3], v5, off
	s_mov_b64 s[10:11], -1
.LBB9_589:
	s_branch .LBB9_517
.LBB9_590:
	v_mov_b32_e32 v5, 5
	v_cmp_lt_i16_sdwa s[8:9], v46, v5 src0_sel:BYTE_0 src1_sel:DWORD
	s_mov_b64 s[4:5], -1
	s_and_b64 vcc, exec, s[8:9]
	s_cbranch_vccnz .LBB9_611
; %bb.591:
	v_mov_b32_e32 v5, 8
	v_cmp_lt_i16_sdwa s[8:9], v46, v5 src0_sel:BYTE_0 src1_sel:DWORD
	s_and_b64 vcc, exec, s[8:9]
	s_cbranch_vccnz .LBB9_601
; %bb.592:
	v_mov_b32_e32 v5, 9
	v_cmp_lt_i16_sdwa s[8:9], v46, v5 src0_sel:BYTE_0 src1_sel:DWORD
	s_and_b64 vcc, exec, s[8:9]
	s_cbranch_vccnz .LBB9_598
; %bb.593:
	v_cmp_gt_i16_sdwa s[8:9], v46, v5 src0_sel:BYTE_0 src1_sel:DWORD
	s_and_b64 vcc, exec, s[8:9]
	s_cbranch_vccz .LBB9_595
; %bb.594:
	v_mov_b32_e32 v44, 0
	v_mov_b32_e32 v45, v44
	global_store_dwordx4 v[2:3], v[42:45], off
	s_mov_b64 s[4:5], 0
.LBB9_595:
	s_andn2_b64 vcc, exec, s[4:5]
	s_cbranch_vccnz .LBB9_597
; %bb.596:
	v_cvt_f32_f64_e32 v6, v[42:43]
	v_mov_b32_e32 v7, 0
	global_store_dwordx2 v[2:3], v[6:7], off
.LBB9_597:
	s_mov_b64 s[4:5], 0
.LBB9_598:
	s_andn2_b64 vcc, exec, s[4:5]
	s_cbranch_vccnz .LBB9_600
; %bb.599:
	v_cvt_f32_f64_e32 v5, v[42:43]
	v_cvt_f16_f32_e32 v5, v5
	global_store_dword v[2:3], v5, off
.LBB9_600:
	s_mov_b64 s[4:5], 0
.LBB9_601:
	s_andn2_b64 vcc, exec, s[4:5]
	s_cbranch_vccnz .LBB9_610
; %bb.602:
	v_mov_b32_e32 v5, 6
	v_cmp_lt_i16_sdwa s[8:9], v46, v5 src0_sel:BYTE_0 src1_sel:DWORD
	s_mov_b64 s[4:5], -1
	s_and_b64 vcc, exec, s[8:9]
	s_cbranch_vccnz .LBB9_608
; %bb.603:
	v_cmp_gt_i16_sdwa s[8:9], v46, v5 src0_sel:BYTE_0 src1_sel:DWORD
	s_and_b64 vcc, exec, s[8:9]
	s_cbranch_vccz .LBB9_605
; %bb.604:
	global_store_dwordx2 v[2:3], v[42:43], off
	s_mov_b64 s[4:5], 0
.LBB9_605:
	s_andn2_b64 vcc, exec, s[4:5]
	s_cbranch_vccnz .LBB9_607
; %bb.606:
	v_cvt_f32_f64_e32 v5, v[42:43]
	global_store_dword v[2:3], v5, off
.LBB9_607:
	s_mov_b64 s[4:5], 0
.LBB9_608:
	s_andn2_b64 vcc, exec, s[4:5]
	s_cbranch_vccnz .LBB9_610
; %bb.609:
	v_cvt_f32_f64_e32 v5, v[42:43]
	v_cvt_f16_f32_e32 v5, v5
	global_store_short v[2:3], v5, off
.LBB9_610:
	s_mov_b64 s[4:5], 0
.LBB9_611:
	s_andn2_b64 vcc, exec, s[4:5]
	s_cbranch_vccnz .LBB9_627
; %bb.612:
	v_mov_b32_e32 v5, 2
	v_cmp_lt_i16_sdwa s[8:9], v46, v5 src0_sel:BYTE_0 src1_sel:DWORD
	s_mov_b64 s[4:5], -1
	s_and_b64 vcc, exec, s[8:9]
	s_cbranch_vccnz .LBB9_622
; %bb.613:
	v_mov_b32_e32 v5, 3
	v_cmp_lt_i16_sdwa s[8:9], v46, v5 src0_sel:BYTE_0 src1_sel:DWORD
	s_and_b64 vcc, exec, s[8:9]
	s_cbranch_vccnz .LBB9_619
; %bb.614:
	v_cmp_gt_i16_sdwa s[8:9], v46, v5 src0_sel:BYTE_0 src1_sel:DWORD
	s_and_b64 vcc, exec, s[8:9]
	s_cbranch_vccz .LBB9_616
; %bb.615:
	v_trunc_f64_e32 v[6:7], v[42:43]
	s_movk_i32 s4, 0xffe0
	v_ldexp_f64 v[8:9], v[6:7], s4
	v_floor_f64_e32 v[8:9], v[8:9]
	v_fmac_f64_e32 v[6:7], 0xc1f00000, v[8:9]
	v_cvt_i32_f64_e32 v11, v[8:9]
	v_cvt_u32_f64_e32 v10, v[6:7]
	global_store_dwordx2 v[2:3], v[10:11], off
	s_mov_b64 s[4:5], 0
.LBB9_616:
	s_andn2_b64 vcc, exec, s[4:5]
	s_cbranch_vccnz .LBB9_618
; %bb.617:
	v_cvt_i32_f64_e32 v5, v[42:43]
	global_store_dword v[2:3], v5, off
.LBB9_618:
	s_mov_b64 s[4:5], 0
.LBB9_619:
	s_andn2_b64 vcc, exec, s[4:5]
	s_cbranch_vccnz .LBB9_621
; %bb.620:
	v_cvt_i32_f64_e32 v5, v[42:43]
	global_store_short v[2:3], v5, off
.LBB9_621:
	s_mov_b64 s[4:5], 0
.LBB9_622:
	s_andn2_b64 vcc, exec, s[4:5]
	s_cbranch_vccnz .LBB9_627
; %bb.623:
	v_mov_b32_e32 v5, 0
	v_cmp_gt_i16_sdwa s[8:9], v46, v5 src0_sel:BYTE_0 src1_sel:DWORD
	s_mov_b64 s[4:5], -1
	s_and_b64 vcc, exec, s[8:9]
	s_cbranch_vccz .LBB9_625
; %bb.624:
	v_cvt_i32_f64_e32 v5, v[42:43]
	global_store_byte v[2:3], v5, off
	s_mov_b64 s[4:5], 0
.LBB9_625:
	s_andn2_b64 vcc, exec, s[4:5]
	s_cbranch_vccnz .LBB9_627
; %bb.626:
	v_trunc_f64_e32 v[6:7], v[42:43]
	s_movk_i32 s4, 0xffe0
	v_ldexp_f64 v[8:9], v[6:7], s4
	v_floor_f64_e32 v[8:9], v[8:9]
	v_fmac_f64_e32 v[6:7], 0xc1f00000, v[8:9]
	v_cvt_u32_f64_e32 v5, v[6:7]
	global_store_byte v[2:3], v5, off
.LBB9_627:
.LBB9_628:
	s_lshl_b32 s16, s38, 7
	v_add_u32_e32 v4, s16, v4
	v_ashrrev_i32_e32 v3, 31, v4
	v_mov_b32_e32 v5, s41
	v_add_co_u32_e32 v2, vcc, s40, v4
	v_addc_co_u32_e32 v3, vcc, v5, v3, vcc
	v_mov_b32_e32 v5, 11
	v_cmp_lt_i16_sdwa s[4:5], v46, v5 src0_sel:BYTE_0 src1_sel:DWORD
	s_and_b64 vcc, exec, s[4:5]
	s_cbranch_vccnz .LBB9_635
; %bb.629:
	v_mov_b32_e32 v5, 25
	v_cmp_gt_i16_sdwa s[4:5], v46, v5 src0_sel:BYTE_0 src1_sel:DWORD
	s_mov_b64 s[12:13], -1
	s_mov_b64 s[8:9], 0
	s_and_b64 vcc, exec, s[4:5]
	s_mov_b64 s[10:11], 0
	s_mov_b64 s[4:5], 0
	s_cbranch_vccz .LBB9_672
; %bb.630:
	v_mov_b32_e32 v5, 28
	v_cmp_gt_i16_sdwa s[4:5], v46, v5 src0_sel:BYTE_0 src1_sel:DWORD
	s_and_b64 vcc, exec, s[4:5]
	s_cbranch_vccz .LBB9_637
; %bb.631:
	v_mov_b32_e32 v5, 43
	v_cmp_gt_i16_sdwa s[4:5], v46, v5 src0_sel:BYTE_0 src1_sel:DWORD
	s_and_b64 vcc, exec, s[4:5]
	s_cbranch_vccz .LBB9_640
; %bb.632:
	v_mov_b32_e32 v5, 45
	v_cmp_gt_i16_sdwa s[4:5], v46, v5 src0_sel:BYTE_0 src1_sel:DWORD
	s_and_b64 vcc, exec, s[4:5]
	s_cbranch_vccz .LBB9_644
; %bb.633:
	v_mov_b32_e32 v5, 46
	v_cmp_eq_u16_sdwa s[10:11], v46, v5 src0_sel:BYTE_0 src1_sel:DWORD
	s_mov_b64 s[4:5], -1
	s_mov_b64 s[12:13], 0
	s_and_b64 vcc, exec, s[10:11]
	s_mov_b64 s[10:11], 0
	s_cbranch_vccz .LBB9_645
; %bb.634:
	v_cvt_f32_f64_e32 v5, v[40:41]
	v_bfe_u32 v6, v5, 16, 1
	s_movk_i32 s4, 0x7fff
	v_add3_u32 v6, v5, v6, s4
	v_lshrrev_b32_e32 v6, 16, v6
	v_mov_b32_e32 v7, 0x7fc0
	v_cmp_o_f32_e32 vcc, v5, v5
	v_cndmask_b32_e32 v5, v7, v6, vcc
	global_store_dword v[2:3], v5, off
	s_mov_b64 s[4:5], 0
	s_mov_b64 s[10:11], -1
	s_branch .LBB9_645
.LBB9_635:
	s_mov_b64 s[10:11], 0
	s_cbranch_execnz .LBB9_716
.LBB9_636:
	s_andn2_b64 vcc, exec, s[10:11]
	s_cbranch_vccz .LBB9_754
	s_branch .LBB9_957
.LBB9_637:
	s_mov_b64 s[4:5], 0
	s_branch .LBB9_655
.LBB9_638:
	s_or_saveexec_b64 s[12:13], s[12:13]
                                        ; implicit-def: $sgpr14
	s_xor_b64 exec, exec, s[12:13]
	s_cbranch_execz .LBB9_540
.LBB9_639:
	s_mov_b32 s14, 0x46000000
	v_add_f32_e64 v6, |v5|, s14
	v_and_b32_e32 v6, 0xff, v6
	v_cmp_ne_u32_e32 vcc, 0, v6
	s_andn2_b64 s[10:11], s[10:11], exec
	s_and_b64 s[16:17], vcc, exec
	s_mov_b32 s14, 0
	s_or_b64 s[10:11], s[10:11], s[16:17]
	s_or_b64 exec, exec, s[12:13]
	v_mov_b32_e32 v7, s14
	s_and_saveexec_b64 s[12:13], s[10:11]
	s_cbranch_execnz .LBB9_541
	s_branch .LBB9_542
.LBB9_640:
	s_mov_b64 s[4:5], 0
	s_branch .LBB9_651
.LBB9_641:
	s_or_b64 s[6:7], s[48:49], exec
	s_trap 2
	s_cbranch_execz .LBB9_588
	s_branch .LBB9_589
.LBB9_642:
	s_or_saveexec_b64 s[10:11], s[10:11]
                                        ; implicit-def: $sgpr12
	s_xor_b64 exec, exec, s[10:11]
	s_cbranch_execz .LBB9_553
.LBB9_643:
	s_mov_b32 s12, 0x42800000
	v_add_f32_e64 v6, |v5|, s12
	v_and_b32_e32 v6, 0xff, v6
	v_cmp_ne_u32_e32 vcc, 0, v6
	s_andn2_b64 s[8:9], s[8:9], exec
	s_and_b64 s[14:15], vcc, exec
	s_mov_b32 s12, 0
	s_or_b64 s[8:9], s[8:9], s[14:15]
	s_or_b64 exec, exec, s[10:11]
	v_mov_b32_e32 v7, s12
	s_and_saveexec_b64 s[10:11], s[8:9]
	s_cbranch_execnz .LBB9_554
	s_branch .LBB9_555
.LBB9_644:
	s_mov_b64 s[4:5], 0
.LBB9_645:
	s_and_b64 vcc, exec, s[12:13]
	s_cbranch_vccz .LBB9_650
; %bb.646:
	v_mov_b32_e32 v5, 44
	v_cmp_eq_u16_sdwa s[12:13], v46, v5 src0_sel:BYTE_0 src1_sel:DWORD
	s_mov_b64 s[4:5], -1
	s_and_b64 vcc, exec, s[12:13]
	s_cbranch_vccz .LBB9_650
; %bb.647:
	v_cvt_f32_f64_e32 v5, v[40:41]
	v_bfe_u32 v6, v5, 23, 8
	s_movk_i32 s4, 0xff
	v_cmp_ne_u32_e32 vcc, s4, v6
	v_mov_b32_e32 v7, 0xff
	s_and_saveexec_b64 s[10:11], vcc
; %bb.648:
	s_mov_b32 s4, 0x3fffff
	v_lshrrev_b32_e32 v7, 23, v5
	v_and_b32_e32 v8, 0x400000, v5
	v_and_or_b32 v5, v5, s4, v6
	v_cmp_ne_u32_e32 vcc, 0, v8
	v_cmp_ne_u32_e64 s[4:5], 0, v5
	s_and_b64 s[4:5], vcc, s[4:5]
	v_cndmask_b32_e64 v5, 0, 1, s[4:5]
	v_add_u32_e32 v7, v7, v5
; %bb.649:
	s_or_b64 exec, exec, s[10:11]
	s_mov_b64 s[4:5], 0
	s_mov_b64 s[10:11], -1
	global_store_byte v[2:3], v7, off
.LBB9_650:
	s_mov_b64 s[12:13], 0
.LBB9_651:
	s_and_b64 vcc, exec, s[12:13]
	s_cbranch_vccz .LBB9_654
; %bb.652:
	v_mov_b32_e32 v5, 29
	v_cmp_eq_u16_sdwa s[12:13], v46, v5 src0_sel:BYTE_0 src1_sel:DWORD
	s_mov_b64 s[4:5], -1
	s_and_b64 vcc, exec, s[12:13]
	s_cbranch_vccz .LBB9_654
; %bb.653:
	v_trunc_f64_e32 v[6:7], v[40:41]
	s_movk_i32 s4, 0xffe0
	v_ldexp_f64 v[8:9], v[6:7], s4
	v_floor_f64_e32 v[8:9], v[8:9]
	v_fmac_f64_e32 v[6:7], 0xc1f00000, v[8:9]
	v_cvt_u32_f64_e32 v11, v[8:9]
	v_cvt_u32_f64_e32 v10, v[6:7]
	global_store_dwordx2 v[2:3], v[10:11], off
	s_mov_b64 s[4:5], 0
	s_mov_b64 s[10:11], -1
.LBB9_654:
	s_mov_b64 s[12:13], 0
.LBB9_655:
	s_and_b64 vcc, exec, s[12:13]
	s_cbranch_vccz .LBB9_671
; %bb.656:
	v_mov_b32_e32 v5, 27
	v_cmp_lt_i16_sdwa s[12:13], v46, v5 src0_sel:BYTE_0 src1_sel:DWORD
	s_mov_b64 s[10:11], -1
	s_and_b64 vcc, exec, s[12:13]
	s_cbranch_vccnz .LBB9_662
; %bb.657:
	v_cmp_gt_i16_sdwa s[12:13], v46, v5 src0_sel:BYTE_0 src1_sel:DWORD
	s_and_b64 vcc, exec, s[12:13]
	v_cvt_u32_f64_e32 v5, v[40:41]
	s_cbranch_vccz .LBB9_659
; %bb.658:
	s_mov_b64 s[10:11], 0
	global_store_dword v[2:3], v5, off
.LBB9_659:
	s_andn2_b64 vcc, exec, s[10:11]
	s_cbranch_vccnz .LBB9_661
; %bb.660:
	global_store_short v[2:3], v5, off
.LBB9_661:
	s_mov_b64 s[10:11], 0
.LBB9_662:
	s_andn2_b64 vcc, exec, s[10:11]
	s_cbranch_vccnz .LBB9_670
; %bb.663:
	v_cvt_f32_f64_e32 v5, v[40:41]
	v_and_b32_e32 v6, 0x7fffffff, v5
	s_mov_b32 s10, 0x43800000
	v_cmp_gt_u32_e32 vcc, s10, v6
	v_mov_b32_e32 v7, 0x80
	s_and_saveexec_b64 s[10:11], vcc
	s_cbranch_execz .LBB9_669
; %bb.664:
	s_mov_b32 s12, 0x3bffffff
	v_cmp_lt_u32_e32 vcc, s12, v6
	s_mov_b64 s[12:13], 0
                                        ; implicit-def: $vgpr6
	s_and_saveexec_b64 s[14:15], vcc
	s_xor_b64 s[14:15], exec, s[14:15]
	s_cbranch_execz .LBB9_841
; %bb.665:
	v_bfe_u32 v6, v5, 20, 1
	s_mov_b32 s17, 0x487ffff
	v_add3_u32 v6, v5, v6, s17
	s_mov_b64 s[12:13], exec
	v_lshrrev_b32_e32 v6, 20, v6
	s_or_saveexec_b64 s[14:15], s[14:15]
                                        ; implicit-def: $sgpr17
	s_xor_b64 exec, exec, s[14:15]
	s_cbranch_execnz .LBB9_842
.LBB9_666:
	s_or_b64 exec, exec, s[14:15]
	v_mov_b32_e32 v7, s17
	s_and_saveexec_b64 s[14:15], s[12:13]
.LBB9_667:
	v_lshrrev_b32_e32 v5, 24, v5
	s_movk_i32 s12, 0x80
	v_and_or_b32 v7, v5, s12, v6
.LBB9_668:
	s_or_b64 exec, exec, s[14:15]
.LBB9_669:
	s_or_b64 exec, exec, s[10:11]
	global_store_byte v[2:3], v7, off
.LBB9_670:
	s_mov_b64 s[10:11], -1
.LBB9_671:
	s_mov_b64 s[12:13], 0
.LBB9_672:
	s_and_b64 vcc, exec, s[12:13]
	s_cbranch_vccz .LBB9_712
; %bb.673:
	v_mov_b32_e32 v5, 22
	v_cmp_gt_i16_sdwa s[12:13], v46, v5 src0_sel:BYTE_0 src1_sel:DWORD
	s_mov_b64 s[8:9], -1
	s_and_b64 vcc, exec, s[12:13]
	s_cbranch_vccz .LBB9_705
; %bb.674:
	v_mov_b32_e32 v5, 24
	v_cmp_lt_i16_sdwa s[10:11], v46, v5 src0_sel:BYTE_0 src1_sel:DWORD
	s_and_b64 vcc, exec, s[10:11]
	s_cbranch_vccnz .LBB9_694
; %bb.675:
	v_cmp_gt_i16_sdwa s[10:11], v46, v5 src0_sel:BYTE_0 src1_sel:DWORD
	s_and_b64 vcc, exec, s[10:11]
	s_cbranch_vccz .LBB9_683
; %bb.676:
	v_cvt_f32_f64_e32 v5, v[40:41]
	v_and_b32_e32 v6, 0x7fffffff, v5
	s_mov_b32 s8, 0x47800000
	v_cmp_gt_u32_e32 vcc, s8, v6
	v_mov_b32_e32 v7, 0x80
	s_and_saveexec_b64 s[8:9], vcc
	s_cbranch_execz .LBB9_682
; %bb.677:
	s_mov_b32 s10, 0x37ffffff
	v_cmp_lt_u32_e32 vcc, s10, v6
	s_mov_b64 s[10:11], 0
                                        ; implicit-def: $vgpr6
	s_and_saveexec_b64 s[12:13], vcc
	s_xor_b64 s[12:13], exec, s[12:13]
	s_cbranch_execz .LBB9_845
; %bb.678:
	v_bfe_u32 v6, v5, 21, 1
	s_mov_b32 s14, 0x88fffff
	v_add3_u32 v6, v5, v6, s14
	s_mov_b64 s[10:11], exec
	v_lshrrev_b32_e32 v6, 21, v6
	s_or_saveexec_b64 s[12:13], s[12:13]
                                        ; implicit-def: $sgpr14
	s_xor_b64 exec, exec, s[12:13]
	s_cbranch_execnz .LBB9_846
.LBB9_679:
	s_or_b64 exec, exec, s[12:13]
	v_mov_b32_e32 v7, s14
	s_and_saveexec_b64 s[12:13], s[10:11]
.LBB9_680:
	v_lshrrev_b32_e32 v5, 24, v5
	s_movk_i32 s10, 0x80
	v_and_or_b32 v7, v5, s10, v6
.LBB9_681:
	s_or_b64 exec, exec, s[12:13]
.LBB9_682:
	s_or_b64 exec, exec, s[8:9]
	s_mov_b64 s[8:9], 0
	global_store_byte v[2:3], v7, off
.LBB9_683:
	s_and_b64 vcc, exec, s[8:9]
	s_cbranch_vccz .LBB9_693
; %bb.684:
	v_cvt_f32_f64_e32 v5, v[40:41]
	v_and_b32_e32 v7, 0x7fffffff, v5
	s_mov_b32 s8, 0x43f00000
	v_cmp_gt_u32_e32 vcc, s8, v7
                                        ; implicit-def: $vgpr6
	s_and_saveexec_b64 s[8:9], vcc
	s_xor_b64 s[8:9], exec, s[8:9]
	s_cbranch_execz .LBB9_690
; %bb.685:
	s_mov_b32 s10, 0x3c7fffff
	v_cmp_lt_u32_e32 vcc, s10, v7
                                        ; implicit-def: $vgpr6
	s_and_saveexec_b64 s[10:11], vcc
	s_xor_b64 s[10:11], exec, s[10:11]
; %bb.686:
	v_bfe_u32 v6, v5, 20, 1
	s_mov_b32 s12, 0x407ffff
	v_add3_u32 v6, v5, v6, s12
	v_lshrrev_b32_e32 v7, 20, v6
	v_and_b32_e32 v6, 0xff00000, v6
	s_mov_b32 s12, 0x7f00000
	v_mov_b32_e32 v8, 0x7e
	v_cmp_ne_u32_e32 vcc, s12, v6
	v_cndmask_b32_e32 v6, v8, v7, vcc
; %bb.687:
	s_andn2_saveexec_b64 s[10:11], s[10:11]
; %bb.688:
	s_mov_b32 s12, 0x46800000
	v_add_f32_e64 v6, |v5|, s12
; %bb.689:
	s_or_b64 exec, exec, s[10:11]
                                        ; implicit-def: $vgpr7
.LBB9_690:
	s_andn2_saveexec_b64 s[8:9], s[8:9]
; %bb.691:
	s_mov_b32 s10, 0x7f800000
	v_mov_b32_e32 v6, 0x7e
	v_mov_b32_e32 v8, 0x7f
	v_cmp_lt_u32_e32 vcc, s10, v7
	v_cndmask_b32_e32 v6, v6, v8, vcc
; %bb.692:
	s_or_b64 exec, exec, s[8:9]
	v_lshrrev_b32_e32 v5, 24, v5
	s_movk_i32 s8, 0x80
	v_and_or_b32 v5, v5, s8, v6
	global_store_byte v[2:3], v5, off
.LBB9_693:
	s_mov_b64 s[8:9], 0
.LBB9_694:
	s_andn2_b64 vcc, exec, s[8:9]
	s_cbranch_vccnz .LBB9_704
; %bb.695:
	v_cvt_f32_f64_e32 v5, v[40:41]
	v_and_b32_e32 v7, 0x7fffffff, v5
	s_mov_b32 s8, 0x47800000
	v_cmp_gt_u32_e32 vcc, s8, v7
                                        ; implicit-def: $vgpr6
	s_and_saveexec_b64 s[8:9], vcc
	s_xor_b64 s[8:9], exec, s[8:9]
	s_cbranch_execz .LBB9_701
; %bb.696:
	s_mov_b32 s10, 0x387fffff
	v_cmp_lt_u32_e32 vcc, s10, v7
                                        ; implicit-def: $vgpr6
	s_and_saveexec_b64 s[10:11], vcc
	s_xor_b64 s[10:11], exec, s[10:11]
; %bb.697:
	v_bfe_u32 v6, v5, 21, 1
	s_mov_b32 s12, 0x80fffff
	v_add3_u32 v6, v5, v6, s12
	v_lshrrev_b32_e32 v6, 21, v6
; %bb.698:
	s_andn2_saveexec_b64 s[10:11], s[10:11]
; %bb.699:
	s_mov_b32 s12, 0x43000000
	v_add_f32_e64 v6, |v5|, s12
; %bb.700:
	s_or_b64 exec, exec, s[10:11]
                                        ; implicit-def: $vgpr7
.LBB9_701:
	s_andn2_saveexec_b64 s[8:9], s[8:9]
; %bb.702:
	s_mov_b32 s10, 0x7f800000
	v_mov_b32_e32 v6, 0x7c
	v_mov_b32_e32 v8, 0x7f
	v_cmp_lt_u32_e32 vcc, s10, v7
	v_cndmask_b32_e32 v6, v6, v8, vcc
; %bb.703:
	s_or_b64 exec, exec, s[8:9]
	v_lshrrev_b32_e32 v5, 24, v5
	s_movk_i32 s8, 0x80
	v_and_or_b32 v5, v5, s8, v6
	global_store_byte v[2:3], v5, off
.LBB9_704:
	s_mov_b64 s[8:9], 0
	s_mov_b64 s[10:11], -1
.LBB9_705:
	s_andn2_b64 vcc, exec, s[8:9]
	s_mov_b64 s[8:9], 0
	s_cbranch_vccnz .LBB9_712
; %bb.706:
	v_mov_b32_e32 v5, 14
	v_cmp_gt_i16_sdwa s[8:9], v46, v5 src0_sel:BYTE_0 src1_sel:DWORD
	s_mov_b64 s[12:13], -1
	s_and_b64 vcc, exec, s[8:9]
	s_cbranch_vccz .LBB9_710
; %bb.707:
	v_mov_b32_e32 v5, 15
	v_cmp_eq_u16_sdwa s[8:9], v46, v5 src0_sel:BYTE_0 src1_sel:DWORD
	s_mov_b64 s[4:5], -1
	s_and_b64 vcc, exec, s[8:9]
	s_cbranch_vccz .LBB9_709
; %bb.708:
	v_cvt_f32_f64_e32 v5, v[40:41]
	v_bfe_u32 v6, v5, 16, 1
	s_movk_i32 s4, 0x7fff
	v_add3_u32 v6, v5, v6, s4
	v_lshrrev_b32_e32 v6, 16, v6
	v_mov_b32_e32 v7, 0x7fc0
	v_cmp_o_f32_e32 vcc, v5, v5
	v_cndmask_b32_e32 v5, v7, v6, vcc
	global_store_short v[2:3], v5, off
	s_mov_b64 s[4:5], 0
	s_mov_b64 s[10:11], -1
.LBB9_709:
	s_mov_b64 s[12:13], 0
.LBB9_710:
	s_mov_b64 s[8:9], 0
	s_and_b64 vcc, exec, s[12:13]
	s_cbranch_vccz .LBB9_712
; %bb.711:
	v_mov_b32_e32 v5, 11
	v_cmp_ne_u16_sdwa s[4:5], v46, v5 src0_sel:BYTE_0 src1_sel:DWORD
	s_mov_b64 s[8:9], -1
.LBB9_712:
	s_and_b64 vcc, exec, s[4:5]
	s_cbranch_vccnz .LBB9_844
; %bb.713:
	s_andn2_b64 vcc, exec, s[8:9]
	s_cbranch_vccnz .LBB9_715
.LBB9_714:
	v_cmp_neq_f64_e32 vcc, 0, v[40:41]
	v_cndmask_b32_e64 v5, 0, 1, vcc
	s_mov_b64 s[10:11], -1
	global_store_byte v[2:3], v5, off
.LBB9_715:
	s_branch .LBB9_636
.LBB9_716:
	v_mov_b32_e32 v5, 5
	v_cmp_lt_i16_sdwa s[8:9], v46, v5 src0_sel:BYTE_0 src1_sel:DWORD
	s_mov_b64 s[4:5], -1
	s_and_b64 vcc, exec, s[8:9]
	s_cbranch_vccnz .LBB9_737
; %bb.717:
	v_mov_b32_e32 v5, 8
	v_cmp_lt_i16_sdwa s[8:9], v46, v5 src0_sel:BYTE_0 src1_sel:DWORD
	s_and_b64 vcc, exec, s[8:9]
	s_cbranch_vccnz .LBB9_727
; %bb.718:
	v_mov_b32_e32 v5, 9
	v_cmp_lt_i16_sdwa s[8:9], v46, v5 src0_sel:BYTE_0 src1_sel:DWORD
	s_and_b64 vcc, exec, s[8:9]
	s_cbranch_vccnz .LBB9_724
; %bb.719:
	v_cmp_gt_i16_sdwa s[8:9], v46, v5 src0_sel:BYTE_0 src1_sel:DWORD
	s_and_b64 vcc, exec, s[8:9]
	s_cbranch_vccz .LBB9_721
; %bb.720:
	v_mov_b32_e32 v42, 0
	v_mov_b32_e32 v43, v42
	global_store_dwordx4 v[2:3], v[40:43], off
	s_mov_b64 s[4:5], 0
.LBB9_721:
	s_andn2_b64 vcc, exec, s[4:5]
	s_cbranch_vccnz .LBB9_723
; %bb.722:
	v_cvt_f32_f64_e32 v6, v[40:41]
	v_mov_b32_e32 v7, 0
	global_store_dwordx2 v[2:3], v[6:7], off
.LBB9_723:
	s_mov_b64 s[4:5], 0
.LBB9_724:
	s_andn2_b64 vcc, exec, s[4:5]
	s_cbranch_vccnz .LBB9_726
; %bb.725:
	v_cvt_f32_f64_e32 v5, v[40:41]
	v_cvt_f16_f32_e32 v5, v5
	global_store_dword v[2:3], v5, off
.LBB9_726:
	s_mov_b64 s[4:5], 0
.LBB9_727:
	s_andn2_b64 vcc, exec, s[4:5]
	s_cbranch_vccnz .LBB9_736
; %bb.728:
	v_mov_b32_e32 v5, 6
	v_cmp_lt_i16_sdwa s[8:9], v46, v5 src0_sel:BYTE_0 src1_sel:DWORD
	s_mov_b64 s[4:5], -1
	s_and_b64 vcc, exec, s[8:9]
	s_cbranch_vccnz .LBB9_734
; %bb.729:
	v_cmp_gt_i16_sdwa s[8:9], v46, v5 src0_sel:BYTE_0 src1_sel:DWORD
	s_and_b64 vcc, exec, s[8:9]
	s_cbranch_vccz .LBB9_731
; %bb.730:
	global_store_dwordx2 v[2:3], v[40:41], off
	s_mov_b64 s[4:5], 0
.LBB9_731:
	s_andn2_b64 vcc, exec, s[4:5]
	s_cbranch_vccnz .LBB9_733
; %bb.732:
	v_cvt_f32_f64_e32 v5, v[40:41]
	global_store_dword v[2:3], v5, off
.LBB9_733:
	s_mov_b64 s[4:5], 0
.LBB9_734:
	s_andn2_b64 vcc, exec, s[4:5]
	s_cbranch_vccnz .LBB9_736
; %bb.735:
	v_cvt_f32_f64_e32 v5, v[40:41]
	v_cvt_f16_f32_e32 v5, v5
	global_store_short v[2:3], v5, off
.LBB9_736:
	s_mov_b64 s[4:5], 0
.LBB9_737:
	s_andn2_b64 vcc, exec, s[4:5]
	s_cbranch_vccnz .LBB9_753
; %bb.738:
	v_mov_b32_e32 v5, 2
	v_cmp_lt_i16_sdwa s[8:9], v46, v5 src0_sel:BYTE_0 src1_sel:DWORD
	s_mov_b64 s[4:5], -1
	s_and_b64 vcc, exec, s[8:9]
	s_cbranch_vccnz .LBB9_748
; %bb.739:
	v_mov_b32_e32 v5, 3
	v_cmp_lt_i16_sdwa s[8:9], v46, v5 src0_sel:BYTE_0 src1_sel:DWORD
	s_and_b64 vcc, exec, s[8:9]
	s_cbranch_vccnz .LBB9_745
; %bb.740:
	v_cmp_gt_i16_sdwa s[8:9], v46, v5 src0_sel:BYTE_0 src1_sel:DWORD
	s_and_b64 vcc, exec, s[8:9]
	s_cbranch_vccz .LBB9_742
; %bb.741:
	v_trunc_f64_e32 v[6:7], v[40:41]
	s_movk_i32 s4, 0xffe0
	v_ldexp_f64 v[8:9], v[6:7], s4
	v_floor_f64_e32 v[8:9], v[8:9]
	v_fmac_f64_e32 v[6:7], 0xc1f00000, v[8:9]
	v_cvt_i32_f64_e32 v11, v[8:9]
	v_cvt_u32_f64_e32 v10, v[6:7]
	global_store_dwordx2 v[2:3], v[10:11], off
	s_mov_b64 s[4:5], 0
.LBB9_742:
	s_andn2_b64 vcc, exec, s[4:5]
	s_cbranch_vccnz .LBB9_744
; %bb.743:
	v_cvt_i32_f64_e32 v5, v[40:41]
	global_store_dword v[2:3], v5, off
.LBB9_744:
	s_mov_b64 s[4:5], 0
.LBB9_745:
	s_andn2_b64 vcc, exec, s[4:5]
	s_cbranch_vccnz .LBB9_747
; %bb.746:
	v_cvt_i32_f64_e32 v5, v[40:41]
	global_store_short v[2:3], v5, off
.LBB9_747:
	s_mov_b64 s[4:5], 0
.LBB9_748:
	s_andn2_b64 vcc, exec, s[4:5]
	s_cbranch_vccnz .LBB9_753
; %bb.749:
	v_mov_b32_e32 v5, 0
	v_cmp_gt_i16_sdwa s[8:9], v46, v5 src0_sel:BYTE_0 src1_sel:DWORD
	s_mov_b64 s[4:5], -1
	s_and_b64 vcc, exec, s[8:9]
	s_cbranch_vccz .LBB9_751
; %bb.750:
	v_cvt_i32_f64_e32 v5, v[40:41]
	global_store_byte v[2:3], v5, off
	s_mov_b64 s[4:5], 0
.LBB9_751:
	s_andn2_b64 vcc, exec, s[4:5]
	s_cbranch_vccnz .LBB9_753
; %bb.752:
	v_trunc_f64_e32 v[6:7], v[40:41]
	s_movk_i32 s4, 0xffe0
	v_ldexp_f64 v[8:9], v[6:7], s4
	v_floor_f64_e32 v[8:9], v[8:9]
	v_fmac_f64_e32 v[6:7], 0xc1f00000, v[8:9]
	v_cvt_u32_f64_e32 v5, v[6:7]
	global_store_byte v[2:3], v5, off
.LBB9_753:
.LBB9_754:
	v_add_u32_e32 v4, s16, v4
	v_ashrrev_i32_e32 v3, 31, v4
	v_mov_b32_e32 v5, s41
	v_add_co_u32_e32 v2, vcc, s40, v4
	v_addc_co_u32_e32 v3, vcc, v5, v3, vcc
	v_mov_b32_e32 v5, 11
	v_cmp_lt_i16_sdwa s[4:5], v46, v5 src0_sel:BYTE_0 src1_sel:DWORD
	s_and_b64 vcc, exec, s[4:5]
	s_cbranch_vccnz .LBB9_761
; %bb.755:
	v_mov_b32_e32 v5, 25
	v_cmp_gt_i16_sdwa s[4:5], v46, v5 src0_sel:BYTE_0 src1_sel:DWORD
	s_mov_b64 s[12:13], -1
	s_mov_b64 s[8:9], 0
	s_and_b64 vcc, exec, s[4:5]
	s_mov_b64 s[10:11], 0
	s_mov_b64 s[4:5], 0
	s_cbranch_vccz .LBB9_875
; %bb.756:
	v_mov_b32_e32 v5, 28
	v_cmp_gt_i16_sdwa s[4:5], v46, v5 src0_sel:BYTE_0 src1_sel:DWORD
	s_and_b64 vcc, exec, s[4:5]
	s_cbranch_vccz .LBB9_840
; %bb.757:
	v_mov_b32_e32 v5, 43
	v_cmp_gt_i16_sdwa s[4:5], v46, v5 src0_sel:BYTE_0 src1_sel:DWORD
	s_and_b64 vcc, exec, s[4:5]
	;; [unrolled: 5-line block ×3, first 2 shown]
	s_cbranch_vccz .LBB9_847
; %bb.759:
	v_mov_b32_e32 v5, 46
	v_cmp_eq_u16_sdwa s[10:11], v46, v5 src0_sel:BYTE_0 src1_sel:DWORD
	s_mov_b64 s[4:5], -1
	s_mov_b64 s[12:13], 0
	s_and_b64 vcc, exec, s[10:11]
	s_mov_b64 s[10:11], 0
	s_cbranch_vccz .LBB9_848
; %bb.760:
	v_cvt_f32_f64_e32 v5, v[38:39]
	v_bfe_u32 v6, v5, 16, 1
	s_movk_i32 s4, 0x7fff
	v_add3_u32 v6, v5, v6, s4
	v_lshrrev_b32_e32 v6, 16, v6
	v_mov_b32_e32 v7, 0x7fc0
	v_cmp_o_f32_e32 vcc, v5, v5
	v_cndmask_b32_e32 v5, v7, v6, vcc
	global_store_dword v[2:3], v5, off
	s_mov_b64 s[4:5], 0
	s_mov_b64 s[10:11], -1
	s_branch .LBB9_848
.LBB9_761:
	s_mov_b64 s[10:11], 0
	s_cbranch_execnz .LBB9_919
.LBB9_762:
	s_andn2_b64 vcc, exec, s[10:11]
	s_cbranch_vccnz .LBB9_957
.LBB9_763:
	v_add_u32_e32 v2, s16, v4
	v_ashrrev_i32_e32 v3, 31, v2
	v_mov_b32_e32 v5, s41
	v_add_co_u32_e32 v4, vcc, s40, v2
	v_addc_co_u32_e32 v5, vcc, v5, v3, vcc
	v_and_b32_e32 v6, 0xff, v46
	v_cmp_gt_i16_e32 vcc, 11, v6
	s_cbranch_vccnz .LBB9_839
; %bb.764:
	v_cmp_lt_i16_e32 vcc, 25, v6
	s_mov_b64 s[10:11], -1
	s_mov_b64 s[8:9], 0
	s_mov_b64 s[4:5], 0
	s_cbranch_vccz .LBB9_797
; %bb.765:
	v_cmp_lt_i16_e32 vcc, 28, v6
	s_cbranch_vccz .LBB9_781
; %bb.766:
	v_cmp_lt_i16_e32 vcc, 43, v6
	;; [unrolled: 3-line block ×3, first 2 shown]
	s_cbranch_vccz .LBB9_771
; %bb.768:
	v_cmp_eq_u16_e32 vcc, 46, v6
	s_mov_b64 s[4:5], -1
	s_cbranch_vccz .LBB9_770
; %bb.769:
	v_cvt_f32_f64_e32 v2, v[0:1]
	v_bfe_u32 v3, v2, 16, 1
	s_movk_i32 s4, 0x7fff
	v_add3_u32 v3, v2, v3, s4
	v_lshrrev_b32_e32 v3, 16, v3
	v_mov_b32_e32 v7, 0x7fc0
	v_cmp_o_f32_e32 vcc, v2, v2
	v_cndmask_b32_e32 v2, v7, v3, vcc
	global_store_dword v[4:5], v2, off
	s_mov_b64 s[4:5], 0
.LBB9_770:
	s_mov_b64 s[10:11], 0
.LBB9_771:
	s_and_b64 vcc, exec, s[10:11]
	s_cbranch_vccz .LBB9_776
; %bb.772:
	v_cmp_eq_u16_e32 vcc, 44, v6
	s_mov_b64 s[4:5], -1
	s_cbranch_vccz .LBB9_776
; %bb.773:
	v_cvt_f32_f64_e32 v2, v[0:1]
	v_bfe_u32 v3, v2, 23, 8
	s_movk_i32 s4, 0xff
	v_cmp_ne_u32_e32 vcc, s4, v3
	v_mov_b32_e32 v7, 0xff
	s_and_saveexec_b64 s[10:11], vcc
; %bb.774:
	s_mov_b32 s4, 0x3fffff
	v_lshrrev_b32_e32 v7, 23, v2
	v_and_b32_e32 v8, 0x400000, v2
	v_and_or_b32 v2, v2, s4, v3
	v_cmp_ne_u32_e32 vcc, 0, v8
	v_cmp_ne_u32_e64 s[4:5], 0, v2
	s_and_b64 s[4:5], vcc, s[4:5]
	v_cndmask_b32_e64 v2, 0, 1, s[4:5]
	v_add_u32_e32 v7, v7, v2
; %bb.775:
	s_or_b64 exec, exec, s[10:11]
	s_mov_b64 s[4:5], 0
	global_store_byte v[4:5], v7, off
.LBB9_776:
	s_mov_b64 s[10:11], 0
.LBB9_777:
	s_and_b64 vcc, exec, s[10:11]
	s_cbranch_vccz .LBB9_780
; %bb.778:
	v_cmp_eq_u16_e32 vcc, 29, v6
	s_mov_b64 s[4:5], -1
	s_cbranch_vccz .LBB9_780
; %bb.779:
	v_trunc_f64_e32 v[2:3], v[0:1]
	s_movk_i32 s4, 0xffe0
	v_ldexp_f64 v[8:9], v[2:3], s4
	v_floor_f64_e32 v[8:9], v[8:9]
	v_fmac_f64_e32 v[2:3], 0xc1f00000, v[8:9]
	v_cvt_u32_f64_e32 v11, v[8:9]
	v_cvt_u32_f64_e32 v10, v[2:3]
	global_store_dwordx2 v[4:5], v[10:11], off
	s_mov_b64 s[4:5], 0
.LBB9_780:
	s_mov_b64 s[10:11], 0
.LBB9_781:
	s_and_b64 vcc, exec, s[10:11]
	s_cbranch_vccz .LBB9_796
; %bb.782:
	v_cmp_gt_i16_e32 vcc, 27, v6
	s_mov_b64 s[10:11], -1
	s_cbranch_vccnz .LBB9_788
; %bb.783:
	v_cmp_lt_i16_e32 vcc, 27, v6
	v_cvt_u32_f64_e32 v2, v[0:1]
	s_cbranch_vccz .LBB9_785
; %bb.784:
	global_store_dword v[4:5], v2, off
	s_mov_b64 s[10:11], 0
.LBB9_785:
	s_andn2_b64 vcc, exec, s[10:11]
	s_cbranch_vccnz .LBB9_787
; %bb.786:
	global_store_short v[4:5], v2, off
.LBB9_787:
	s_mov_b64 s[10:11], 0
.LBB9_788:
	s_andn2_b64 vcc, exec, s[10:11]
	s_cbranch_vccnz .LBB9_796
; %bb.789:
	v_cvt_f32_f64_e32 v2, v[0:1]
	v_and_b32_e32 v3, 0x7fffffff, v2
	s_mov_b32 s10, 0x43800000
	v_cmp_gt_u32_e32 vcc, s10, v3
	v_mov_b32_e32 v7, 0x80
	s_and_saveexec_b64 s[10:11], vcc
	s_cbranch_execz .LBB9_795
; %bb.790:
	s_mov_b32 s12, 0x3bffffff
	v_cmp_lt_u32_e32 vcc, s12, v3
	s_mov_b64 s[12:13], 0
                                        ; implicit-def: $vgpr3
	s_and_saveexec_b64 s[14:15], vcc
	s_xor_b64 s[14:15], exec, s[14:15]
	s_cbranch_execz .LBB9_1007
; %bb.791:
	v_bfe_u32 v3, v2, 20, 1
	s_mov_b32 s16, 0x487ffff
	v_add3_u32 v3, v2, v3, s16
	s_mov_b64 s[12:13], exec
	v_lshrrev_b32_e32 v3, 20, v3
	s_or_saveexec_b64 s[14:15], s[14:15]
                                        ; implicit-def: $sgpr16
	s_xor_b64 exec, exec, s[14:15]
	s_cbranch_execnz .LBB9_1008
.LBB9_792:
	s_or_b64 exec, exec, s[14:15]
	v_mov_b32_e32 v7, s16
	s_and_saveexec_b64 s[14:15], s[12:13]
.LBB9_793:
	v_lshrrev_b32_e32 v2, 24, v2
	s_movk_i32 s12, 0x80
	v_and_or_b32 v7, v2, s12, v3
.LBB9_794:
	s_or_b64 exec, exec, s[14:15]
.LBB9_795:
	s_or_b64 exec, exec, s[10:11]
	global_store_byte v[4:5], v7, off
.LBB9_796:
	s_mov_b64 s[10:11], 0
.LBB9_797:
	s_and_b64 vcc, exec, s[10:11]
	s_cbranch_vccz .LBB9_837
; %bb.798:
	v_cmp_lt_i16_e32 vcc, 22, v6
	s_mov_b64 s[8:9], -1
	s_cbranch_vccz .LBB9_830
; %bb.799:
	v_cmp_gt_i16_e32 vcc, 24, v6
	s_cbranch_vccnz .LBB9_819
; %bb.800:
	v_cmp_lt_i16_e32 vcc, 24, v6
	s_cbranch_vccz .LBB9_808
; %bb.801:
	v_cvt_f32_f64_e32 v2, v[0:1]
	v_and_b32_e32 v3, 0x7fffffff, v2
	s_mov_b32 s8, 0x47800000
	v_cmp_gt_u32_e32 vcc, s8, v3
	v_mov_b32_e32 v7, 0x80
	s_and_saveexec_b64 s[8:9], vcc
	s_cbranch_execz .LBB9_807
; %bb.802:
	s_mov_b32 s10, 0x37ffffff
	v_cmp_lt_u32_e32 vcc, s10, v3
	s_mov_b64 s[10:11], 0
                                        ; implicit-def: $vgpr3
	s_and_saveexec_b64 s[12:13], vcc
	s_xor_b64 s[12:13], exec, s[12:13]
	s_cbranch_execz .LBB9_1016
; %bb.803:
	v_bfe_u32 v3, v2, 21, 1
	s_mov_b32 s14, 0x88fffff
	v_add3_u32 v3, v2, v3, s14
	s_mov_b64 s[10:11], exec
	v_lshrrev_b32_e32 v3, 21, v3
	s_or_saveexec_b64 s[12:13], s[12:13]
                                        ; implicit-def: $sgpr14
	s_xor_b64 exec, exec, s[12:13]
	s_cbranch_execnz .LBB9_1017
.LBB9_804:
	s_or_b64 exec, exec, s[12:13]
	v_mov_b32_e32 v7, s14
	s_and_saveexec_b64 s[12:13], s[10:11]
.LBB9_805:
	v_lshrrev_b32_e32 v2, 24, v2
	s_movk_i32 s10, 0x80
	v_and_or_b32 v7, v2, s10, v3
.LBB9_806:
	s_or_b64 exec, exec, s[12:13]
.LBB9_807:
	s_or_b64 exec, exec, s[8:9]
	s_mov_b64 s[8:9], 0
	global_store_byte v[4:5], v7, off
.LBB9_808:
	s_and_b64 vcc, exec, s[8:9]
	s_cbranch_vccz .LBB9_818
; %bb.809:
	v_cvt_f32_f64_e32 v2, v[0:1]
	v_and_b32_e32 v7, 0x7fffffff, v2
	s_mov_b32 s8, 0x43f00000
	v_cmp_gt_u32_e32 vcc, s8, v7
                                        ; implicit-def: $vgpr3
	s_and_saveexec_b64 s[8:9], vcc
	s_xor_b64 s[8:9], exec, s[8:9]
	s_cbranch_execz .LBB9_815
; %bb.810:
	s_mov_b32 s10, 0x3c7fffff
	v_cmp_lt_u32_e32 vcc, s10, v7
                                        ; implicit-def: $vgpr3
	s_and_saveexec_b64 s[10:11], vcc
	s_xor_b64 s[10:11], exec, s[10:11]
; %bb.811:
	v_bfe_u32 v3, v2, 20, 1
	s_mov_b32 s12, 0x407ffff
	v_add3_u32 v3, v2, v3, s12
	v_lshrrev_b32_e32 v7, 20, v3
	v_and_b32_e32 v3, 0xff00000, v3
	s_mov_b32 s12, 0x7f00000
	v_mov_b32_e32 v8, 0x7e
	v_cmp_ne_u32_e32 vcc, s12, v3
	v_cndmask_b32_e32 v3, v8, v7, vcc
; %bb.812:
	s_andn2_saveexec_b64 s[10:11], s[10:11]
; %bb.813:
	s_mov_b32 s12, 0x46800000
	v_add_f32_e64 v3, |v2|, s12
; %bb.814:
	s_or_b64 exec, exec, s[10:11]
                                        ; implicit-def: $vgpr7
.LBB9_815:
	s_andn2_saveexec_b64 s[8:9], s[8:9]
; %bb.816:
	s_mov_b32 s10, 0x7f800000
	v_mov_b32_e32 v3, 0x7e
	v_mov_b32_e32 v8, 0x7f
	v_cmp_lt_u32_e32 vcc, s10, v7
	v_cndmask_b32_e32 v3, v3, v8, vcc
; %bb.817:
	s_or_b64 exec, exec, s[8:9]
	v_lshrrev_b32_e32 v2, 24, v2
	s_movk_i32 s8, 0x80
	v_and_or_b32 v2, v2, s8, v3
	global_store_byte v[4:5], v2, off
.LBB9_818:
	s_mov_b64 s[8:9], 0
.LBB9_819:
	s_andn2_b64 vcc, exec, s[8:9]
	s_cbranch_vccnz .LBB9_829
; %bb.820:
	v_cvt_f32_f64_e32 v2, v[0:1]
	v_and_b32_e32 v7, 0x7fffffff, v2
	s_mov_b32 s8, 0x47800000
	v_cmp_gt_u32_e32 vcc, s8, v7
                                        ; implicit-def: $vgpr3
	s_and_saveexec_b64 s[8:9], vcc
	s_xor_b64 s[8:9], exec, s[8:9]
	s_cbranch_execz .LBB9_826
; %bb.821:
	s_mov_b32 s10, 0x387fffff
	v_cmp_lt_u32_e32 vcc, s10, v7
                                        ; implicit-def: $vgpr3
	s_and_saveexec_b64 s[10:11], vcc
	s_xor_b64 s[10:11], exec, s[10:11]
; %bb.822:
	v_bfe_u32 v3, v2, 21, 1
	s_mov_b32 s12, 0x80fffff
	v_add3_u32 v3, v2, v3, s12
	v_lshrrev_b32_e32 v3, 21, v3
; %bb.823:
	s_andn2_saveexec_b64 s[10:11], s[10:11]
; %bb.824:
	s_mov_b32 s12, 0x43000000
	v_add_f32_e64 v3, |v2|, s12
; %bb.825:
	s_or_b64 exec, exec, s[10:11]
                                        ; implicit-def: $vgpr7
.LBB9_826:
	s_andn2_saveexec_b64 s[8:9], s[8:9]
; %bb.827:
	s_mov_b32 s10, 0x7f800000
	v_mov_b32_e32 v3, 0x7c
	v_mov_b32_e32 v8, 0x7f
	v_cmp_lt_u32_e32 vcc, s10, v7
	v_cndmask_b32_e32 v3, v3, v8, vcc
; %bb.828:
	s_or_b64 exec, exec, s[8:9]
	v_lshrrev_b32_e32 v2, 24, v2
	s_movk_i32 s8, 0x80
	v_and_or_b32 v2, v2, s8, v3
	global_store_byte v[4:5], v2, off
.LBB9_829:
	s_mov_b64 s[8:9], 0
.LBB9_830:
	s_andn2_b64 vcc, exec, s[8:9]
	s_mov_b64 s[8:9], 0
	s_cbranch_vccnz .LBB9_837
; %bb.831:
	v_cmp_lt_i16_e32 vcc, 14, v6
	s_mov_b64 s[10:11], -1
	s_cbranch_vccz .LBB9_835
; %bb.832:
	v_cmp_eq_u16_e32 vcc, 15, v6
	s_mov_b64 s[4:5], -1
	s_cbranch_vccz .LBB9_834
; %bb.833:
	v_cvt_f32_f64_e32 v2, v[0:1]
	v_bfe_u32 v3, v2, 16, 1
	s_movk_i32 s4, 0x7fff
	v_add3_u32 v3, v2, v3, s4
	v_lshrrev_b32_e32 v3, 16, v3
	v_mov_b32_e32 v7, 0x7fc0
	v_cmp_o_f32_e32 vcc, v2, v2
	v_cndmask_b32_e32 v2, v7, v3, vcc
	global_store_short v[4:5], v2, off
	s_mov_b64 s[4:5], 0
.LBB9_834:
	s_mov_b64 s[10:11], 0
.LBB9_835:
	s_and_b64 vcc, exec, s[10:11]
	s_cbranch_vccz .LBB9_837
; %bb.836:
	v_cmp_ne_u16_e64 s[4:5], 11, v6
	s_mov_b64 s[8:9], -1
.LBB9_837:
	s_and_b64 vcc, exec, s[4:5]
	s_cbranch_vccnz .LBB9_1011
.LBB9_838:
	s_mov_b64 s[4:5], 0
	s_branch .LBB9_958
.LBB9_839:
	s_mov_b64 s[8:9], 0
	s_mov_b64 s[4:5], -1
	s_branch .LBB9_958
.LBB9_840:
	s_mov_b64 s[4:5], 0
	s_branch .LBB9_858
.LBB9_841:
	s_or_saveexec_b64 s[14:15], s[14:15]
                                        ; implicit-def: $sgpr17
	s_xor_b64 exec, exec, s[14:15]
	s_cbranch_execz .LBB9_666
.LBB9_842:
	s_mov_b32 s17, 0x46000000
	v_add_f32_e64 v6, |v5|, s17
	v_and_b32_e32 v6, 0xff, v6
	v_cmp_ne_u32_e32 vcc, 0, v6
	s_andn2_b64 s[12:13], s[12:13], exec
	s_and_b64 s[18:19], vcc, exec
	s_mov_b32 s17, 0
	s_or_b64 s[12:13], s[12:13], s[18:19]
	s_or_b64 exec, exec, s[14:15]
	v_mov_b32_e32 v7, s17
	s_and_saveexec_b64 s[14:15], s[12:13]
	s_cbranch_execnz .LBB9_667
	s_branch .LBB9_668
.LBB9_843:
	s_mov_b64 s[4:5], 0
	s_branch .LBB9_854
.LBB9_844:
	s_trap 2
	s_or_b64 s[6:7], s[6:7], exec
	s_cbranch_execz .LBB9_714
	s_branch .LBB9_715
.LBB9_845:
	s_or_saveexec_b64 s[12:13], s[12:13]
                                        ; implicit-def: $sgpr14
	s_xor_b64 exec, exec, s[12:13]
	s_cbranch_execz .LBB9_679
.LBB9_846:
	s_mov_b32 s14, 0x42800000
	v_add_f32_e64 v6, |v5|, s14
	v_and_b32_e32 v6, 0xff, v6
	v_cmp_ne_u32_e32 vcc, 0, v6
	s_andn2_b64 s[10:11], s[10:11], exec
	s_and_b64 s[18:19], vcc, exec
	s_mov_b32 s14, 0
	s_or_b64 s[10:11], s[10:11], s[18:19]
	s_or_b64 exec, exec, s[12:13]
	v_mov_b32_e32 v7, s14
	s_and_saveexec_b64 s[12:13], s[10:11]
	s_cbranch_execnz .LBB9_680
	s_branch .LBB9_681
.LBB9_847:
	s_mov_b64 s[4:5], 0
.LBB9_848:
	s_and_b64 vcc, exec, s[12:13]
	s_cbranch_vccz .LBB9_853
; %bb.849:
	v_mov_b32_e32 v5, 44
	v_cmp_eq_u16_sdwa s[12:13], v46, v5 src0_sel:BYTE_0 src1_sel:DWORD
	s_mov_b64 s[4:5], -1
	s_and_b64 vcc, exec, s[12:13]
	s_cbranch_vccz .LBB9_853
; %bb.850:
	v_cvt_f32_f64_e32 v5, v[38:39]
	v_bfe_u32 v6, v5, 23, 8
	s_movk_i32 s4, 0xff
	v_cmp_ne_u32_e32 vcc, s4, v6
	v_mov_b32_e32 v7, 0xff
	s_and_saveexec_b64 s[10:11], vcc
; %bb.851:
	s_mov_b32 s4, 0x3fffff
	v_lshrrev_b32_e32 v7, 23, v5
	v_and_b32_e32 v8, 0x400000, v5
	v_and_or_b32 v5, v5, s4, v6
	v_cmp_ne_u32_e32 vcc, 0, v8
	v_cmp_ne_u32_e64 s[4:5], 0, v5
	s_and_b64 s[4:5], vcc, s[4:5]
	v_cndmask_b32_e64 v5, 0, 1, s[4:5]
	v_add_u32_e32 v7, v7, v5
; %bb.852:
	s_or_b64 exec, exec, s[10:11]
	s_mov_b64 s[4:5], 0
	s_mov_b64 s[10:11], -1
	global_store_byte v[2:3], v7, off
.LBB9_853:
	s_mov_b64 s[12:13], 0
.LBB9_854:
	s_and_b64 vcc, exec, s[12:13]
	s_cbranch_vccz .LBB9_857
; %bb.855:
	v_mov_b32_e32 v5, 29
	v_cmp_eq_u16_sdwa s[12:13], v46, v5 src0_sel:BYTE_0 src1_sel:DWORD
	s_mov_b64 s[4:5], -1
	s_and_b64 vcc, exec, s[12:13]
	s_cbranch_vccz .LBB9_857
; %bb.856:
	v_trunc_f64_e32 v[6:7], v[38:39]
	s_movk_i32 s4, 0xffe0
	v_ldexp_f64 v[8:9], v[6:7], s4
	v_floor_f64_e32 v[8:9], v[8:9]
	v_fmac_f64_e32 v[6:7], 0xc1f00000, v[8:9]
	v_cvt_u32_f64_e32 v11, v[8:9]
	v_cvt_u32_f64_e32 v10, v[6:7]
	global_store_dwordx2 v[2:3], v[10:11], off
	s_mov_b64 s[4:5], 0
	s_mov_b64 s[10:11], -1
.LBB9_857:
	s_mov_b64 s[12:13], 0
.LBB9_858:
	s_and_b64 vcc, exec, s[12:13]
	s_cbranch_vccz .LBB9_874
; %bb.859:
	v_mov_b32_e32 v5, 27
	v_cmp_lt_i16_sdwa s[12:13], v46, v5 src0_sel:BYTE_0 src1_sel:DWORD
	s_mov_b64 s[10:11], -1
	s_and_b64 vcc, exec, s[12:13]
	s_cbranch_vccnz .LBB9_865
; %bb.860:
	v_cmp_gt_i16_sdwa s[12:13], v46, v5 src0_sel:BYTE_0 src1_sel:DWORD
	s_and_b64 vcc, exec, s[12:13]
	v_cvt_u32_f64_e32 v5, v[38:39]
	s_cbranch_vccz .LBB9_862
; %bb.861:
	s_mov_b64 s[10:11], 0
	global_store_dword v[2:3], v5, off
.LBB9_862:
	s_andn2_b64 vcc, exec, s[10:11]
	s_cbranch_vccnz .LBB9_864
; %bb.863:
	global_store_short v[2:3], v5, off
.LBB9_864:
	s_mov_b64 s[10:11], 0
.LBB9_865:
	s_andn2_b64 vcc, exec, s[10:11]
	s_cbranch_vccnz .LBB9_873
; %bb.866:
	v_cvt_f32_f64_e32 v5, v[38:39]
	v_and_b32_e32 v6, 0x7fffffff, v5
	s_mov_b32 s10, 0x43800000
	v_cmp_gt_u32_e32 vcc, s10, v6
	v_mov_b32_e32 v7, 0x80
	s_and_saveexec_b64 s[10:11], vcc
	s_cbranch_execz .LBB9_872
; %bb.867:
	s_mov_b32 s12, 0x3bffffff
	v_cmp_lt_u32_e32 vcc, s12, v6
	s_mov_b64 s[12:13], 0
                                        ; implicit-def: $vgpr6
	s_and_saveexec_b64 s[14:15], vcc
	s_xor_b64 s[14:15], exec, s[14:15]
	s_cbranch_execz .LBB9_1002
; %bb.868:
	v_bfe_u32 v6, v5, 20, 1
	s_mov_b32 s17, 0x487ffff
	v_add3_u32 v6, v5, v6, s17
	s_mov_b64 s[12:13], exec
	v_lshrrev_b32_e32 v6, 20, v6
	s_or_saveexec_b64 s[14:15], s[14:15]
                                        ; implicit-def: $sgpr17
	s_xor_b64 exec, exec, s[14:15]
	s_cbranch_execnz .LBB9_1003
.LBB9_869:
	s_or_b64 exec, exec, s[14:15]
	v_mov_b32_e32 v7, s17
	s_and_saveexec_b64 s[14:15], s[12:13]
.LBB9_870:
	v_lshrrev_b32_e32 v5, 24, v5
	s_movk_i32 s12, 0x80
	v_and_or_b32 v7, v5, s12, v6
.LBB9_871:
	s_or_b64 exec, exec, s[14:15]
.LBB9_872:
	s_or_b64 exec, exec, s[10:11]
	global_store_byte v[2:3], v7, off
.LBB9_873:
	s_mov_b64 s[10:11], -1
.LBB9_874:
	s_mov_b64 s[12:13], 0
.LBB9_875:
	s_and_b64 vcc, exec, s[12:13]
	s_cbranch_vccz .LBB9_915
; %bb.876:
	v_mov_b32_e32 v5, 22
	v_cmp_gt_i16_sdwa s[12:13], v46, v5 src0_sel:BYTE_0 src1_sel:DWORD
	s_mov_b64 s[8:9], -1
	s_and_b64 vcc, exec, s[12:13]
	s_cbranch_vccz .LBB9_908
; %bb.877:
	v_mov_b32_e32 v5, 24
	v_cmp_lt_i16_sdwa s[10:11], v46, v5 src0_sel:BYTE_0 src1_sel:DWORD
	s_and_b64 vcc, exec, s[10:11]
	s_cbranch_vccnz .LBB9_897
; %bb.878:
	v_cmp_gt_i16_sdwa s[10:11], v46, v5 src0_sel:BYTE_0 src1_sel:DWORD
	s_and_b64 vcc, exec, s[10:11]
	s_cbranch_vccz .LBB9_886
; %bb.879:
	v_cvt_f32_f64_e32 v5, v[38:39]
	v_and_b32_e32 v6, 0x7fffffff, v5
	s_mov_b32 s8, 0x47800000
	v_cmp_gt_u32_e32 vcc, s8, v6
	v_mov_b32_e32 v7, 0x80
	s_and_saveexec_b64 s[8:9], vcc
	s_cbranch_execz .LBB9_885
; %bb.880:
	s_mov_b32 s10, 0x37ffffff
	v_cmp_lt_u32_e32 vcc, s10, v6
	s_mov_b64 s[10:11], 0
                                        ; implicit-def: $vgpr6
	s_and_saveexec_b64 s[12:13], vcc
	s_xor_b64 s[12:13], exec, s[12:13]
	s_cbranch_execz .LBB9_1009
; %bb.881:
	v_bfe_u32 v6, v5, 21, 1
	s_mov_b32 s14, 0x88fffff
	v_add3_u32 v6, v5, v6, s14
	s_mov_b64 s[10:11], exec
	v_lshrrev_b32_e32 v6, 21, v6
	s_or_saveexec_b64 s[12:13], s[12:13]
                                        ; implicit-def: $sgpr14
	s_xor_b64 exec, exec, s[12:13]
	s_cbranch_execnz .LBB9_1010
.LBB9_882:
	s_or_b64 exec, exec, s[12:13]
	v_mov_b32_e32 v7, s14
	s_and_saveexec_b64 s[12:13], s[10:11]
.LBB9_883:
	v_lshrrev_b32_e32 v5, 24, v5
	s_movk_i32 s10, 0x80
	v_and_or_b32 v7, v5, s10, v6
.LBB9_884:
	s_or_b64 exec, exec, s[12:13]
.LBB9_885:
	s_or_b64 exec, exec, s[8:9]
	s_mov_b64 s[8:9], 0
	global_store_byte v[2:3], v7, off
.LBB9_886:
	s_and_b64 vcc, exec, s[8:9]
	s_cbranch_vccz .LBB9_896
; %bb.887:
	v_cvt_f32_f64_e32 v5, v[38:39]
	v_and_b32_e32 v7, 0x7fffffff, v5
	s_mov_b32 s8, 0x43f00000
	v_cmp_gt_u32_e32 vcc, s8, v7
                                        ; implicit-def: $vgpr6
	s_and_saveexec_b64 s[8:9], vcc
	s_xor_b64 s[8:9], exec, s[8:9]
	s_cbranch_execz .LBB9_893
; %bb.888:
	s_mov_b32 s10, 0x3c7fffff
	v_cmp_lt_u32_e32 vcc, s10, v7
                                        ; implicit-def: $vgpr6
	s_and_saveexec_b64 s[10:11], vcc
	s_xor_b64 s[10:11], exec, s[10:11]
; %bb.889:
	v_bfe_u32 v6, v5, 20, 1
	s_mov_b32 s12, 0x407ffff
	v_add3_u32 v6, v5, v6, s12
	v_lshrrev_b32_e32 v7, 20, v6
	v_and_b32_e32 v6, 0xff00000, v6
	s_mov_b32 s12, 0x7f00000
	v_mov_b32_e32 v8, 0x7e
	v_cmp_ne_u32_e32 vcc, s12, v6
	v_cndmask_b32_e32 v6, v8, v7, vcc
; %bb.890:
	s_andn2_saveexec_b64 s[10:11], s[10:11]
; %bb.891:
	s_mov_b32 s12, 0x46800000
	v_add_f32_e64 v6, |v5|, s12
; %bb.892:
	s_or_b64 exec, exec, s[10:11]
                                        ; implicit-def: $vgpr7
.LBB9_893:
	s_andn2_saveexec_b64 s[8:9], s[8:9]
; %bb.894:
	s_mov_b32 s10, 0x7f800000
	v_mov_b32_e32 v6, 0x7e
	v_mov_b32_e32 v8, 0x7f
	v_cmp_lt_u32_e32 vcc, s10, v7
	v_cndmask_b32_e32 v6, v6, v8, vcc
; %bb.895:
	s_or_b64 exec, exec, s[8:9]
	v_lshrrev_b32_e32 v5, 24, v5
	s_movk_i32 s8, 0x80
	v_and_or_b32 v5, v5, s8, v6
	global_store_byte v[2:3], v5, off
.LBB9_896:
	s_mov_b64 s[8:9], 0
.LBB9_897:
	s_andn2_b64 vcc, exec, s[8:9]
	s_cbranch_vccnz .LBB9_907
; %bb.898:
	v_cvt_f32_f64_e32 v5, v[38:39]
	v_and_b32_e32 v7, 0x7fffffff, v5
	s_mov_b32 s8, 0x47800000
	v_cmp_gt_u32_e32 vcc, s8, v7
                                        ; implicit-def: $vgpr6
	s_and_saveexec_b64 s[8:9], vcc
	s_xor_b64 s[8:9], exec, s[8:9]
	s_cbranch_execz .LBB9_904
; %bb.899:
	s_mov_b32 s10, 0x387fffff
	v_cmp_lt_u32_e32 vcc, s10, v7
                                        ; implicit-def: $vgpr6
	s_and_saveexec_b64 s[10:11], vcc
	s_xor_b64 s[10:11], exec, s[10:11]
; %bb.900:
	v_bfe_u32 v6, v5, 21, 1
	s_mov_b32 s12, 0x80fffff
	v_add3_u32 v6, v5, v6, s12
	v_lshrrev_b32_e32 v6, 21, v6
; %bb.901:
	s_andn2_saveexec_b64 s[10:11], s[10:11]
; %bb.902:
	s_mov_b32 s12, 0x43000000
	v_add_f32_e64 v6, |v5|, s12
; %bb.903:
	s_or_b64 exec, exec, s[10:11]
                                        ; implicit-def: $vgpr7
.LBB9_904:
	s_andn2_saveexec_b64 s[8:9], s[8:9]
; %bb.905:
	s_mov_b32 s10, 0x7f800000
	v_mov_b32_e32 v6, 0x7c
	v_mov_b32_e32 v8, 0x7f
	v_cmp_lt_u32_e32 vcc, s10, v7
	v_cndmask_b32_e32 v6, v6, v8, vcc
; %bb.906:
	s_or_b64 exec, exec, s[8:9]
	v_lshrrev_b32_e32 v5, 24, v5
	s_movk_i32 s8, 0x80
	v_and_or_b32 v5, v5, s8, v6
	global_store_byte v[2:3], v5, off
.LBB9_907:
	s_mov_b64 s[8:9], 0
	s_mov_b64 s[10:11], -1
.LBB9_908:
	s_andn2_b64 vcc, exec, s[8:9]
	s_mov_b64 s[8:9], 0
	s_cbranch_vccnz .LBB9_915
; %bb.909:
	v_mov_b32_e32 v5, 14
	v_cmp_gt_i16_sdwa s[8:9], v46, v5 src0_sel:BYTE_0 src1_sel:DWORD
	s_mov_b64 s[12:13], -1
	s_and_b64 vcc, exec, s[8:9]
	s_cbranch_vccz .LBB9_913
; %bb.910:
	v_mov_b32_e32 v5, 15
	v_cmp_eq_u16_sdwa s[8:9], v46, v5 src0_sel:BYTE_0 src1_sel:DWORD
	s_mov_b64 s[4:5], -1
	s_and_b64 vcc, exec, s[8:9]
	s_cbranch_vccz .LBB9_912
; %bb.911:
	v_cvt_f32_f64_e32 v5, v[38:39]
	v_bfe_u32 v6, v5, 16, 1
	s_movk_i32 s4, 0x7fff
	v_add3_u32 v6, v5, v6, s4
	v_lshrrev_b32_e32 v6, 16, v6
	v_mov_b32_e32 v7, 0x7fc0
	v_cmp_o_f32_e32 vcc, v5, v5
	v_cndmask_b32_e32 v5, v7, v6, vcc
	global_store_short v[2:3], v5, off
	s_mov_b64 s[4:5], 0
	s_mov_b64 s[10:11], -1
.LBB9_912:
	s_mov_b64 s[12:13], 0
.LBB9_913:
	s_mov_b64 s[8:9], 0
	s_and_b64 vcc, exec, s[12:13]
	s_cbranch_vccz .LBB9_915
; %bb.914:
	v_mov_b32_e32 v5, 11
	v_cmp_ne_u16_sdwa s[4:5], v46, v5 src0_sel:BYTE_0 src1_sel:DWORD
	s_mov_b64 s[8:9], -1
.LBB9_915:
	s_and_b64 vcc, exec, s[4:5]
	s_cbranch_vccnz .LBB9_1004
; %bb.916:
	s_andn2_b64 vcc, exec, s[8:9]
	s_cbranch_vccnz .LBB9_918
.LBB9_917:
	v_cmp_neq_f64_e32 vcc, 0, v[38:39]
	v_cndmask_b32_e64 v5, 0, 1, vcc
	s_mov_b64 s[10:11], -1
	global_store_byte v[2:3], v5, off
.LBB9_918:
	s_branch .LBB9_762
.LBB9_919:
	v_mov_b32_e32 v5, 5
	v_cmp_lt_i16_sdwa s[8:9], v46, v5 src0_sel:BYTE_0 src1_sel:DWORD
	s_mov_b64 s[4:5], -1
	s_and_b64 vcc, exec, s[8:9]
	s_cbranch_vccnz .LBB9_940
; %bb.920:
	v_mov_b32_e32 v5, 8
	v_cmp_lt_i16_sdwa s[8:9], v46, v5 src0_sel:BYTE_0 src1_sel:DWORD
	s_and_b64 vcc, exec, s[8:9]
	s_cbranch_vccnz .LBB9_930
; %bb.921:
	v_mov_b32_e32 v5, 9
	v_cmp_lt_i16_sdwa s[8:9], v46, v5 src0_sel:BYTE_0 src1_sel:DWORD
	s_and_b64 vcc, exec, s[8:9]
	s_cbranch_vccnz .LBB9_927
; %bb.922:
	v_cmp_gt_i16_sdwa s[8:9], v46, v5 src0_sel:BYTE_0 src1_sel:DWORD
	s_and_b64 vcc, exec, s[8:9]
	s_cbranch_vccz .LBB9_924
; %bb.923:
	v_mov_b32_e32 v40, 0
	v_mov_b32_e32 v41, v40
	global_store_dwordx4 v[2:3], v[38:41], off
	s_mov_b64 s[4:5], 0
.LBB9_924:
	s_andn2_b64 vcc, exec, s[4:5]
	s_cbranch_vccnz .LBB9_926
; %bb.925:
	v_cvt_f32_f64_e32 v6, v[38:39]
	v_mov_b32_e32 v7, 0
	global_store_dwordx2 v[2:3], v[6:7], off
.LBB9_926:
	s_mov_b64 s[4:5], 0
.LBB9_927:
	s_andn2_b64 vcc, exec, s[4:5]
	s_cbranch_vccnz .LBB9_929
; %bb.928:
	v_cvt_f32_f64_e32 v5, v[38:39]
	v_cvt_f16_f32_e32 v5, v5
	global_store_dword v[2:3], v5, off
.LBB9_929:
	s_mov_b64 s[4:5], 0
.LBB9_930:
	s_andn2_b64 vcc, exec, s[4:5]
	s_cbranch_vccnz .LBB9_939
; %bb.931:
	v_mov_b32_e32 v5, 6
	v_cmp_lt_i16_sdwa s[8:9], v46, v5 src0_sel:BYTE_0 src1_sel:DWORD
	s_mov_b64 s[4:5], -1
	s_and_b64 vcc, exec, s[8:9]
	s_cbranch_vccnz .LBB9_937
; %bb.932:
	v_cmp_gt_i16_sdwa s[8:9], v46, v5 src0_sel:BYTE_0 src1_sel:DWORD
	s_and_b64 vcc, exec, s[8:9]
	s_cbranch_vccz .LBB9_934
; %bb.933:
	global_store_dwordx2 v[2:3], v[38:39], off
	s_mov_b64 s[4:5], 0
.LBB9_934:
	s_andn2_b64 vcc, exec, s[4:5]
	s_cbranch_vccnz .LBB9_936
; %bb.935:
	v_cvt_f32_f64_e32 v5, v[38:39]
	global_store_dword v[2:3], v5, off
.LBB9_936:
	s_mov_b64 s[4:5], 0
.LBB9_937:
	s_andn2_b64 vcc, exec, s[4:5]
	s_cbranch_vccnz .LBB9_939
; %bb.938:
	v_cvt_f32_f64_e32 v5, v[38:39]
	v_cvt_f16_f32_e32 v5, v5
	global_store_short v[2:3], v5, off
.LBB9_939:
	s_mov_b64 s[4:5], 0
.LBB9_940:
	s_andn2_b64 vcc, exec, s[4:5]
	s_cbranch_vccnz .LBB9_956
; %bb.941:
	v_mov_b32_e32 v5, 2
	v_cmp_lt_i16_sdwa s[8:9], v46, v5 src0_sel:BYTE_0 src1_sel:DWORD
	s_mov_b64 s[4:5], -1
	s_and_b64 vcc, exec, s[8:9]
	s_cbranch_vccnz .LBB9_951
; %bb.942:
	v_mov_b32_e32 v5, 3
	v_cmp_lt_i16_sdwa s[8:9], v46, v5 src0_sel:BYTE_0 src1_sel:DWORD
	s_and_b64 vcc, exec, s[8:9]
	s_cbranch_vccnz .LBB9_948
; %bb.943:
	v_cmp_gt_i16_sdwa s[8:9], v46, v5 src0_sel:BYTE_0 src1_sel:DWORD
	s_and_b64 vcc, exec, s[8:9]
	s_cbranch_vccz .LBB9_945
; %bb.944:
	v_trunc_f64_e32 v[6:7], v[38:39]
	s_movk_i32 s4, 0xffe0
	v_ldexp_f64 v[8:9], v[6:7], s4
	v_floor_f64_e32 v[8:9], v[8:9]
	v_fmac_f64_e32 v[6:7], 0xc1f00000, v[8:9]
	v_cvt_i32_f64_e32 v11, v[8:9]
	v_cvt_u32_f64_e32 v10, v[6:7]
	global_store_dwordx2 v[2:3], v[10:11], off
	s_mov_b64 s[4:5], 0
.LBB9_945:
	s_andn2_b64 vcc, exec, s[4:5]
	s_cbranch_vccnz .LBB9_947
; %bb.946:
	v_cvt_i32_f64_e32 v5, v[38:39]
	global_store_dword v[2:3], v5, off
.LBB9_947:
	s_mov_b64 s[4:5], 0
.LBB9_948:
	s_andn2_b64 vcc, exec, s[4:5]
	s_cbranch_vccnz .LBB9_950
; %bb.949:
	v_cvt_i32_f64_e32 v5, v[38:39]
	global_store_short v[2:3], v5, off
.LBB9_950:
	s_mov_b64 s[4:5], 0
.LBB9_951:
	s_andn2_b64 vcc, exec, s[4:5]
	s_cbranch_vccnz .LBB9_956
; %bb.952:
	v_mov_b32_e32 v5, 0
	v_cmp_gt_i16_sdwa s[8:9], v46, v5 src0_sel:BYTE_0 src1_sel:DWORD
	s_mov_b64 s[4:5], -1
	s_and_b64 vcc, exec, s[8:9]
	s_cbranch_vccz .LBB9_954
; %bb.953:
	v_cvt_i32_f64_e32 v5, v[38:39]
	global_store_byte v[2:3], v5, off
	s_mov_b64 s[4:5], 0
.LBB9_954:
	s_andn2_b64 vcc, exec, s[4:5]
	s_cbranch_vccnz .LBB9_956
; %bb.955:
	v_trunc_f64_e32 v[6:7], v[38:39]
	s_movk_i32 s4, 0xffe0
	v_ldexp_f64 v[8:9], v[6:7], s4
	v_floor_f64_e32 v[8:9], v[8:9]
	v_fmac_f64_e32 v[6:7], 0xc1f00000, v[8:9]
	v_cvt_u32_f64_e32 v5, v[6:7]
	global_store_byte v[2:3], v5, off
.LBB9_956:
	s_branch .LBB9_763
.LBB9_957:
	s_mov_b64 s[4:5], 0
	s_mov_b64 s[8:9], 0
                                        ; implicit-def: $vgpr6
                                        ; implicit-def: $vgpr4_vgpr5
.LBB9_958:
	s_and_b64 s[44:45], s[8:9], exec
	s_andn2_b64 s[8:9], s[48:49], exec
	s_and_b64 s[6:7], s[6:7], exec
	s_and_b64 s[4:5], s[4:5], exec
	s_or_b64 s[48:49], s[8:9], s[6:7]
.LBB9_959:
	s_or_b64 exec, exec, s[46:47]
	s_and_saveexec_b64 s[6:7], s[48:49]
	s_cbranch_execz .LBB9_962
; %bb.960:
	; divergent unreachable
	s_or_b64 exec, exec, s[6:7]
	s_and_saveexec_b64 s[6:7], s[44:45]
	s_xor_b64 s[6:7], exec, s[6:7]
	s_cbranch_execnz .LBB9_963
.LBB9_961:
	s_or_b64 exec, exec, s[6:7]
	s_and_saveexec_b64 s[6:7], s[4:5]
	s_cbranch_execnz .LBB9_964
	s_branch .LBB9_1001
.LBB9_962:
	s_or_b64 exec, exec, s[6:7]
	s_and_saveexec_b64 s[6:7], s[44:45]
	s_xor_b64 s[6:7], exec, s[6:7]
	s_cbranch_execz .LBB9_961
.LBB9_963:
	v_cmp_neq_f64_e32 vcc, 0, v[0:1]
	v_cndmask_b32_e64 v2, 0, 1, vcc
	global_store_byte v[4:5], v2, off
	s_or_b64 exec, exec, s[6:7]
	s_and_saveexec_b64 s[6:7], s[4:5]
	s_cbranch_execz .LBB9_1001
.LBB9_964:
	v_cmp_gt_i16_e32 vcc, 5, v6
	s_mov_b64 s[4:5], -1
	s_cbranch_vccnz .LBB9_985
; %bb.965:
	v_cmp_gt_i16_e32 vcc, 8, v6
	s_cbranch_vccnz .LBB9_975
; %bb.966:
	v_cmp_gt_i16_e32 vcc, 9, v6
	s_cbranch_vccnz .LBB9_972
; %bb.967:
	v_cmp_lt_i16_e32 vcc, 9, v6
	s_cbranch_vccz .LBB9_969
; %bb.968:
	v_mov_b32_e32 v2, 0
	v_mov_b32_e32 v3, v2
	global_store_dwordx4 v[4:5], v[0:3], off
	s_mov_b64 s[4:5], 0
.LBB9_969:
	s_andn2_b64 vcc, exec, s[4:5]
	s_cbranch_vccnz .LBB9_971
; %bb.970:
	v_cvt_f32_f64_e32 v2, v[0:1]
	v_mov_b32_e32 v3, 0
	global_store_dwordx2 v[4:5], v[2:3], off
.LBB9_971:
	s_mov_b64 s[4:5], 0
.LBB9_972:
	s_andn2_b64 vcc, exec, s[4:5]
	s_cbranch_vccnz .LBB9_974
; %bb.973:
	v_cvt_f32_f64_e32 v2, v[0:1]
	v_cvt_f16_f32_e32 v2, v2
	global_store_dword v[4:5], v2, off
.LBB9_974:
	s_mov_b64 s[4:5], 0
.LBB9_975:
	s_andn2_b64 vcc, exec, s[4:5]
	s_cbranch_vccnz .LBB9_984
; %bb.976:
	v_cmp_gt_i16_e32 vcc, 6, v6
	s_mov_b64 s[4:5], -1
	s_cbranch_vccnz .LBB9_982
; %bb.977:
	v_cmp_lt_i16_e32 vcc, 6, v6
	s_cbranch_vccz .LBB9_979
; %bb.978:
	global_store_dwordx2 v[4:5], v[0:1], off
	s_mov_b64 s[4:5], 0
.LBB9_979:
	s_andn2_b64 vcc, exec, s[4:5]
	s_cbranch_vccnz .LBB9_981
; %bb.980:
	v_cvt_f32_f64_e32 v2, v[0:1]
	global_store_dword v[4:5], v2, off
.LBB9_981:
	s_mov_b64 s[4:5], 0
.LBB9_982:
	s_andn2_b64 vcc, exec, s[4:5]
	s_cbranch_vccnz .LBB9_984
; %bb.983:
	v_cvt_f32_f64_e32 v2, v[0:1]
	v_cvt_f16_f32_e32 v2, v2
	global_store_short v[4:5], v2, off
.LBB9_984:
	s_mov_b64 s[4:5], 0
.LBB9_985:
	s_andn2_b64 vcc, exec, s[4:5]
	s_cbranch_vccnz .LBB9_1001
; %bb.986:
	v_cmp_gt_i16_e32 vcc, 2, v6
	s_mov_b64 s[4:5], -1
	s_cbranch_vccnz .LBB9_996
; %bb.987:
	v_cmp_gt_i16_e32 vcc, 3, v6
	s_cbranch_vccnz .LBB9_993
; %bb.988:
	v_cmp_lt_i16_e32 vcc, 3, v6
	s_cbranch_vccz .LBB9_990
; %bb.989:
	v_trunc_f64_e32 v[2:3], v[0:1]
	s_movk_i32 s4, 0xffe0
	v_ldexp_f64 v[8:9], v[2:3], s4
	v_floor_f64_e32 v[8:9], v[8:9]
	v_fmac_f64_e32 v[2:3], 0xc1f00000, v[8:9]
	v_cvt_i32_f64_e32 v11, v[8:9]
	v_cvt_u32_f64_e32 v10, v[2:3]
	global_store_dwordx2 v[4:5], v[10:11], off
	s_mov_b64 s[4:5], 0
.LBB9_990:
	s_andn2_b64 vcc, exec, s[4:5]
	s_cbranch_vccnz .LBB9_992
; %bb.991:
	v_cvt_i32_f64_e32 v2, v[0:1]
	global_store_dword v[4:5], v2, off
.LBB9_992:
	s_mov_b64 s[4:5], 0
.LBB9_993:
	s_andn2_b64 vcc, exec, s[4:5]
	s_cbranch_vccnz .LBB9_995
; %bb.994:
	v_cvt_i32_f64_e32 v2, v[0:1]
	global_store_short v[4:5], v2, off
.LBB9_995:
	s_mov_b64 s[4:5], 0
.LBB9_996:
	s_andn2_b64 vcc, exec, s[4:5]
	s_cbranch_vccnz .LBB9_1001
; %bb.997:
	v_cmp_lt_i16_e32 vcc, 0, v6
	s_mov_b64 s[4:5], -1
	s_cbranch_vccz .LBB9_999
; %bb.998:
	v_cvt_i32_f64_e32 v2, v[0:1]
	global_store_byte v[4:5], v2, off
	s_mov_b64 s[4:5], 0
.LBB9_999:
	s_andn2_b64 vcc, exec, s[4:5]
	s_cbranch_vccnz .LBB9_1001
; %bb.1000:
	v_trunc_f64_e32 v[0:1], v[0:1]
	s_movk_i32 s4, 0xffe0
	v_ldexp_f64 v[2:3], v[0:1], s4
	v_floor_f64_e32 v[2:3], v[2:3]
	v_fmac_f64_e32 v[0:1], 0xc1f00000, v[2:3]
	v_cvt_u32_f64_e32 v0, v[0:1]
	global_store_byte v[4:5], v0, off
	s_endpgm
.LBB9_1001:
	s_endpgm
.LBB9_1002:
	s_or_saveexec_b64 s[14:15], s[14:15]
                                        ; implicit-def: $sgpr17
	s_xor_b64 exec, exec, s[14:15]
	s_cbranch_execz .LBB9_869
.LBB9_1003:
	s_mov_b32 s17, 0x46000000
	v_add_f32_e64 v6, |v5|, s17
	v_and_b32_e32 v6, 0xff, v6
	v_cmp_ne_u32_e32 vcc, 0, v6
	s_andn2_b64 s[12:13], s[12:13], exec
	s_and_b64 s[18:19], vcc, exec
	s_mov_b32 s17, 0
	s_or_b64 s[12:13], s[12:13], s[18:19]
	s_or_b64 exec, exec, s[14:15]
	v_mov_b32_e32 v7, s17
	s_and_saveexec_b64 s[14:15], s[12:13]
	s_cbranch_execnz .LBB9_870
	s_branch .LBB9_871
.LBB9_1004:
	s_trap 2
	s_or_b64 s[6:7], s[6:7], exec
	s_cbranch_execz .LBB9_917
	s_branch .LBB9_918
.LBB9_1005:
	s_or_saveexec_b64 s[10:11], s[10:11]
                                        ; implicit-def: $sgpr12
	s_xor_b64 exec, exec, s[10:11]
	s_cbranch_execz .LBB9_295
.LBB9_1006:
	s_mov_b32 s12, 0x46000000
	v_add_f32_e64 v3, |v2|, s12
	v_and_b32_e32 v3, 0xff, v3
	v_cmp_ne_u32_e32 vcc, 0, v3
	s_andn2_b64 s[8:9], s[8:9], exec
	s_and_b64 s[14:15], vcc, exec
	s_mov_b32 s12, 0
	s_or_b64 s[8:9], s[8:9], s[14:15]
	s_or_b64 exec, exec, s[10:11]
	v_mov_b32_e32 v6, s12
	s_and_saveexec_b64 s[10:11], s[8:9]
	s_cbranch_execnz .LBB9_296
	s_branch .LBB9_297
.LBB9_1007:
	s_or_saveexec_b64 s[14:15], s[14:15]
                                        ; implicit-def: $sgpr16
	s_xor_b64 exec, exec, s[14:15]
	s_cbranch_execz .LBB9_792
.LBB9_1008:
	s_mov_b32 s16, 0x46000000
	v_add_f32_e64 v3, |v2|, s16
	v_and_b32_e32 v3, 0xff, v3
	v_cmp_ne_u32_e32 vcc, 0, v3
	s_andn2_b64 s[12:13], s[12:13], exec
	s_and_b64 s[18:19], vcc, exec
	s_mov_b32 s16, 0
	s_or_b64 s[12:13], s[12:13], s[18:19]
	s_or_b64 exec, exec, s[14:15]
	v_mov_b32_e32 v7, s16
	s_and_saveexec_b64 s[14:15], s[12:13]
	s_cbranch_execnz .LBB9_793
	s_branch .LBB9_794
.LBB9_1009:
	s_or_saveexec_b64 s[12:13], s[12:13]
                                        ; implicit-def: $sgpr14
	s_xor_b64 exec, exec, s[12:13]
	s_cbranch_execz .LBB9_882
.LBB9_1010:
	s_mov_b32 s14, 0x42800000
	v_add_f32_e64 v6, |v5|, s14
	v_and_b32_e32 v6, 0xff, v6
	v_cmp_ne_u32_e32 vcc, 0, v6
	s_andn2_b64 s[10:11], s[10:11], exec
	s_and_b64 s[18:19], vcc, exec
	s_mov_b32 s14, 0
	s_or_b64 s[10:11], s[10:11], s[18:19]
	s_or_b64 exec, exec, s[12:13]
	v_mov_b32_e32 v7, s14
	s_and_saveexec_b64 s[12:13], s[10:11]
	s_cbranch_execnz .LBB9_883
	s_branch .LBB9_884
.LBB9_1011:
	s_mov_b64 s[8:9], 0
	s_or_b64 s[6:7], s[6:7], exec
	s_trap 2
	s_branch .LBB9_838
.LBB9_1012:
	s_or_saveexec_b64 s[10:11], s[10:11]
                                        ; implicit-def: $sgpr12
	s_xor_b64 exec, exec, s[10:11]
	s_cbranch_execz .LBB9_308
.LBB9_1013:
	s_mov_b32 s12, 0x42800000
	v_add_f32_e64 v3, |v2|, s12
	v_and_b32_e32 v3, 0xff, v3
	v_cmp_ne_u32_e32 vcc, 0, v3
	s_andn2_b64 s[8:9], s[8:9], exec
	s_and_b64 s[14:15], vcc, exec
	s_mov_b32 s12, 0
	s_or_b64 s[8:9], s[8:9], s[14:15]
	s_or_b64 exec, exec, s[10:11]
	v_mov_b32_e32 v6, s12
	s_and_saveexec_b64 s[10:11], s[8:9]
	s_cbranch_execnz .LBB9_309
	s_branch .LBB9_310
.LBB9_1014:
	s_or_saveexec_b64 s[10:11], s[10:11]
                                        ; implicit-def: $sgpr12
	s_xor_b64 exec, exec, s[10:11]
	s_cbranch_execz .LBB9_417
.LBB9_1015:
	s_mov_b32 s12, 0x46000000
	v_add_f32_e64 v3, |v2|, s12
	v_and_b32_e32 v3, 0xff, v3
	v_cmp_ne_u32_e32 vcc, 0, v3
	s_andn2_b64 s[8:9], s[8:9], exec
	s_and_b64 s[14:15], vcc, exec
	s_mov_b32 s12, 0
	s_or_b64 s[8:9], s[8:9], s[14:15]
	s_or_b64 exec, exec, s[10:11]
	v_mov_b32_e32 v7, s12
	s_and_saveexec_b64 s[10:11], s[8:9]
	s_cbranch_execnz .LBB9_418
	s_branch .LBB9_419
.LBB9_1016:
	s_or_saveexec_b64 s[12:13], s[12:13]
                                        ; implicit-def: $sgpr14
	s_xor_b64 exec, exec, s[12:13]
	s_cbranch_execz .LBB9_804
.LBB9_1017:
	s_mov_b32 s14, 0x42800000
	v_add_f32_e64 v3, |v2|, s14
	v_and_b32_e32 v3, 0xff, v3
	v_cmp_ne_u32_e32 vcc, 0, v3
	s_andn2_b64 s[10:11], s[10:11], exec
	s_and_b64 s[16:17], vcc, exec
	s_mov_b32 s14, 0
	s_or_b64 s[10:11], s[10:11], s[16:17]
	s_or_b64 exec, exec, s[12:13]
	v_mov_b32_e32 v7, s14
	s_and_saveexec_b64 s[12:13], s[10:11]
	s_cbranch_execnz .LBB9_805
	s_branch .LBB9_806
.LBB9_1018:
	s_or_saveexec_b64 s[12:13], s[12:13]
                                        ; implicit-def: $sgpr14
	s_xor_b64 exec, exec, s[12:13]
	s_cbranch_execz .LBB9_429
.LBB9_1019:
	s_mov_b32 s14, 0x42800000
	v_add_f32_e64 v3, |v2|, s14
	v_and_b32_e32 v3, 0xff, v3
	v_cmp_ne_u32_e32 vcc, 0, v3
	s_andn2_b64 s[10:11], s[10:11], exec
	s_and_b64 s[16:17], vcc, exec
	s_mov_b32 s14, 0
	s_or_b64 s[10:11], s[10:11], s[16:17]
	s_or_b64 exec, exec, s[12:13]
	v_mov_b32_e32 v7, s14
	s_and_saveexec_b64 s[12:13], s[10:11]
	s_cbranch_execnz .LBB9_430
	s_branch .LBB9_431
	.section	.rodata,"a",@progbits
	.p2align	6, 0x0
	.amdhsa_kernel _ZN2at6native32elementwise_kernel_manual_unrollILi128ELi4EZNS0_15gpu_kernel_implIZZZNS0_12_GLOBAL__N_119airy_ai_kernel_cudaERNS_18TensorIteratorBaseEENKUlvE_clEvENKUlvE_clEvEUldE_EEvS5_RKT_EUlibE_EEviT1_
		.amdhsa_group_segment_fixed_size 0
		.amdhsa_private_segment_fixed_size 8
		.amdhsa_kernarg_size 40
		.amdhsa_user_sgpr_count 8
		.amdhsa_user_sgpr_private_segment_buffer 1
		.amdhsa_user_sgpr_dispatch_ptr 0
		.amdhsa_user_sgpr_queue_ptr 0
		.amdhsa_user_sgpr_kernarg_segment_ptr 1
		.amdhsa_user_sgpr_dispatch_id 0
		.amdhsa_user_sgpr_flat_scratch_init 1
		.amdhsa_user_sgpr_kernarg_preload_length 0
		.amdhsa_user_sgpr_kernarg_preload_offset 0
		.amdhsa_user_sgpr_private_segment_size 0
		.amdhsa_uses_dynamic_stack 0
		.amdhsa_system_sgpr_private_segment_wavefront_offset 1
		.amdhsa_system_sgpr_workgroup_id_x 1
		.amdhsa_system_sgpr_workgroup_id_y 0
		.amdhsa_system_sgpr_workgroup_id_z 0
		.amdhsa_system_sgpr_workgroup_info 0
		.amdhsa_system_vgpr_workitem_id 0
		.amdhsa_next_free_vgpr 47
		.amdhsa_next_free_sgpr 62
		.amdhsa_accum_offset 48
		.amdhsa_reserve_vcc 1
		.amdhsa_reserve_flat_scratch 1
		.amdhsa_float_round_mode_32 0
		.amdhsa_float_round_mode_16_64 0
		.amdhsa_float_denorm_mode_32 3
		.amdhsa_float_denorm_mode_16_64 3
		.amdhsa_dx10_clamp 1
		.amdhsa_ieee_mode 1
		.amdhsa_fp16_overflow 0
		.amdhsa_tg_split 0
		.amdhsa_exception_fp_ieee_invalid_op 0
		.amdhsa_exception_fp_denorm_src 0
		.amdhsa_exception_fp_ieee_div_zero 0
		.amdhsa_exception_fp_ieee_overflow 0
		.amdhsa_exception_fp_ieee_underflow 0
		.amdhsa_exception_fp_ieee_inexact 0
		.amdhsa_exception_int_div_zero 0
	.end_amdhsa_kernel
	.section	.text._ZN2at6native32elementwise_kernel_manual_unrollILi128ELi4EZNS0_15gpu_kernel_implIZZZNS0_12_GLOBAL__N_119airy_ai_kernel_cudaERNS_18TensorIteratorBaseEENKUlvE_clEvENKUlvE_clEvEUldE_EEvS5_RKT_EUlibE_EEviT1_,"axG",@progbits,_ZN2at6native32elementwise_kernel_manual_unrollILi128ELi4EZNS0_15gpu_kernel_implIZZZNS0_12_GLOBAL__N_119airy_ai_kernel_cudaERNS_18TensorIteratorBaseEENKUlvE_clEvENKUlvE_clEvEUldE_EEvS5_RKT_EUlibE_EEviT1_,comdat
.Lfunc_end9:
	.size	_ZN2at6native32elementwise_kernel_manual_unrollILi128ELi4EZNS0_15gpu_kernel_implIZZZNS0_12_GLOBAL__N_119airy_ai_kernel_cudaERNS_18TensorIteratorBaseEENKUlvE_clEvENKUlvE_clEvEUldE_EEvS5_RKT_EUlibE_EEviT1_, .Lfunc_end9-_ZN2at6native32elementwise_kernel_manual_unrollILi128ELi4EZNS0_15gpu_kernel_implIZZZNS0_12_GLOBAL__N_119airy_ai_kernel_cudaERNS_18TensorIteratorBaseEENKUlvE_clEvENKUlvE_clEvEUldE_EEvS5_RKT_EUlibE_EEviT1_
                                        ; -- End function
	.section	.AMDGPU.csdata,"",@progbits
; Kernel info:
; codeLenInByte = 18632
; NumSgprs: 68
; NumVgprs: 47
; NumAgprs: 0
; TotalNumVgprs: 47
; ScratchSize: 8
; MemoryBound: 0
; FloatMode: 240
; IeeeMode: 1
; LDSByteSize: 0 bytes/workgroup (compile time only)
; SGPRBlocks: 8
; VGPRBlocks: 5
; NumSGPRsForWavesPerEU: 68
; NumVGPRsForWavesPerEU: 47
; AccumOffset: 48
; Occupancy: 8
; WaveLimiterHint : 0
; COMPUTE_PGM_RSRC2:SCRATCH_EN: 1
; COMPUTE_PGM_RSRC2:USER_SGPR: 8
; COMPUTE_PGM_RSRC2:TRAP_HANDLER: 0
; COMPUTE_PGM_RSRC2:TGID_X_EN: 1
; COMPUTE_PGM_RSRC2:TGID_Y_EN: 0
; COMPUTE_PGM_RSRC2:TGID_Z_EN: 0
; COMPUTE_PGM_RSRC2:TIDIG_COMP_CNT: 0
; COMPUTE_PGM_RSRC3_GFX90A:ACCUM_OFFSET: 11
; COMPUTE_PGM_RSRC3_GFX90A:TG_SPLIT: 0
	.text
	.p2align	2                               ; -- Begin function _ZN2at6native6invokeIZZZNS0_12_GLOBAL__N_119airy_ai_kernel_cudaERNS_18TensorIteratorBaseEENKUlvE_clEvENKUlvE_clEvEUldE_j15function_traitsIS7_EEENT1_11result_typeERKT_PrKPcPKT0_PKN3c1010ScalarTypeEi
	.type	_ZN2at6native6invokeIZZZNS0_12_GLOBAL__N_119airy_ai_kernel_cudaERNS_18TensorIteratorBaseEENKUlvE_clEvENKUlvE_clEvEUldE_j15function_traitsIS7_EEENT1_11result_typeERKT_PrKPcPKT0_PKN3c1010ScalarTypeEi,@function
_ZN2at6native6invokeIZZZNS0_12_GLOBAL__N_119airy_ai_kernel_cudaERNS_18TensorIteratorBaseEENKUlvE_clEvENKUlvE_clEvEUldE_j15function_traitsIS7_EEENT1_11result_typeERKT_PrKPcPKT0_PKN3c1010ScalarTypeEi: ; @_ZN2at6native6invokeIZZZNS0_12_GLOBAL__N_119airy_ai_kernel_cudaERNS_18TensorIteratorBaseEENKUlvE_clEvENKUlvE_clEvEUldE_j15function_traitsIS7_EEENT1_11result_typeERKT_PrKPcPKT0_PKN3c1010ScalarTypeEi
; %bb.0:
	s_waitcnt vmcnt(0) expcnt(0) lgkmcnt(0)
	s_xor_saveexec_b64 s[4:5], -1
	buffer_store_dword v36, off, s[0:3], s32 ; 4-byte Folded Spill
	s_mov_b64 exec, s[4:5]
	v_writelane_b32 v36, s34, 0
	v_writelane_b32 v36, s35, 1
	v_writelane_b32 v36, s36, 2
	v_writelane_b32 v36, s37, 3
	v_writelane_b32 v36, s30, 4
	v_writelane_b32 v36, s31, 5
	v_add_co_u32_e32 v0, vcc, v0, v2
	v_mov_b32_e32 v2, 10
	v_addc_co_u32_e32 v1, vcc, 0, v1, vcc
	v_cmp_gt_i16_sdwa s[4:5], v3, v2 src0_sel:BYTE_0 src1_sel:DWORD
	s_mov_b64 s[8:9], 0
                                        ; implicit-def: $vgpr4_vgpr5
	s_and_saveexec_b64 s[6:7], s[4:5]
	s_xor_b64 s[4:5], exec, s[6:7]
	s_cbranch_execz .LBB10_40
; %bb.1:
	v_mov_b32_e32 v2, 25
	v_cmp_gt_i16_sdwa s[10:11], v3, v2 src0_sel:BYTE_0 src1_sel:DWORD
	s_mov_b64 s[6:7], 0
	s_mov_b64 s[12:13], 0
                                        ; implicit-def: $vgpr4_vgpr5
	s_and_saveexec_b64 s[14:15], s[10:11]
	s_xor_b64 s[10:11], exec, s[14:15]
	s_cbranch_execz .LBB10_95
; %bb.2:
	v_mov_b32_e32 v2, 28
	v_cmp_gt_i16_sdwa s[8:9], v3, v2 src0_sel:BYTE_0 src1_sel:DWORD
	s_mov_b64 s[14:15], 0
                                        ; implicit-def: $vgpr4_vgpr5
	s_and_saveexec_b64 s[16:17], s[8:9]
	s_xor_b64 s[8:9], exec, s[16:17]
	s_cbranch_execz .LBB10_18
; %bb.3:
	v_mov_b32_e32 v2, 43
	v_cmp_gt_i16_sdwa s[12:13], v3, v2 src0_sel:BYTE_0 src1_sel:DWORD
	s_mov_b64 s[16:17], 0
	s_mov_b64 s[18:19], 0
                                        ; implicit-def: $vgpr4_vgpr5
	s_and_saveexec_b64 s[14:15], s[12:13]
	s_xor_b64 s[12:13], exec, s[14:15]
	s_cbranch_execz .LBB10_13
; %bb.4:
	v_mov_b32_e32 v2, 45
	v_cmp_gt_i16_sdwa s[18:19], v3, v2 src0_sel:BYTE_0 src1_sel:DWORD
	s_mov_b64 s[14:15], 0
                                        ; implicit-def: $vgpr4_vgpr5
	s_and_saveexec_b64 s[20:21], s[18:19]
	s_xor_b64 s[18:19], exec, s[20:21]
	s_cbranch_execz .LBB10_8
; %bb.5:
	v_mov_b32_e32 v2, 46
	v_cmp_eq_u16_sdwa s[22:23], v3, v2 src0_sel:BYTE_0 src1_sel:DWORD
	s_mov_b64 s[20:21], -1
                                        ; implicit-def: $vgpr4_vgpr5
	s_and_saveexec_b64 s[16:17], s[22:23]
	s_cbranch_execz .LBB10_7
; %bb.6:
	flat_load_dword v2, v[0:1]
	s_mov_b64 s[14:15], exec
	s_xor_b64 s[20:21], exec, -1
	s_waitcnt vmcnt(0) lgkmcnt(0)
	v_lshlrev_b32_e32 v2, 16, v2
	v_cvt_f64_f32_e32 v[4:5], v2
.LBB10_7:
	s_or_b64 exec, exec, s[16:17]
	s_and_b64 s[16:17], s[14:15], exec
	s_and_b64 s[14:15], s[20:21], exec
                                        ; implicit-def: $vgpr3
.LBB10_8:
	s_andn2_saveexec_b64 s[18:19], s[18:19]
	s_cbranch_execz .LBB10_12
; %bb.9:
	v_mov_b32_e32 v2, 44
	v_cmp_eq_u16_sdwa s[26:27], v3, v2 src0_sel:BYTE_0 src1_sel:DWORD
	s_mov_b64 s[24:25], -1
	s_mov_b64 s[22:23], s[16:17]
                                        ; implicit-def: $vgpr4_vgpr5
	s_and_saveexec_b64 s[20:21], s[26:27]
	s_cbranch_execz .LBB10_11
; %bb.10:
	flat_load_ubyte v4, v[0:1]
	s_movk_i32 s24, 0xff
	v_bfrev_b32_e32 v5, 4
	v_mov_b32_e32 v6, 0x7ff80000
	v_bfrev_b32_e32 v7, 28
	s_or_b64 s[22:23], s[16:17], exec
	s_waitcnt vmcnt(0) lgkmcnt(0)
	v_lshlrev_b32_e32 v2, 23, v4
	v_cvt_f64_f32_e32 v[2:3], v2
	v_cmp_ne_u32_e32 vcc, s24, v4
	v_cndmask_b32_e32 v2, v5, v2, vcc
	v_cndmask_b32_e32 v3, v6, v3, vcc
	v_cmp_ne_u32_e32 vcc, 0, v4
	v_cndmask_b32_e32 v5, v7, v3, vcc
	v_cndmask_b32_e32 v4, 0, v2, vcc
	s_xor_b64 s[24:25], exec, -1
.LBB10_11:
	s_or_b64 exec, exec, s[20:21]
	s_andn2_b64 s[16:17], s[16:17], exec
	s_and_b64 s[20:21], s[22:23], exec
	s_or_b64 s[16:17], s[16:17], s[20:21]
	s_andn2_b64 s[14:15], s[14:15], exec
	s_and_b64 s[20:21], s[24:25], exec
	s_or_b64 s[14:15], s[14:15], s[20:21]
.LBB10_12:
	s_or_b64 exec, exec, s[18:19]
	s_and_b64 s[18:19], s[16:17], exec
	s_and_b64 s[16:17], s[14:15], exec
                                        ; implicit-def: $vgpr3
.LBB10_13:
	s_andn2_saveexec_b64 s[12:13], s[12:13]
	s_cbranch_execz .LBB10_17
; %bb.14:
	v_mov_b32_e32 v2, 29
	v_cmp_eq_u16_sdwa s[24:25], v3, v2 src0_sel:BYTE_0 src1_sel:DWORD
	s_mov_b64 s[14:15], -1
	s_mov_b64 s[20:21], s[18:19]
                                        ; implicit-def: $vgpr4_vgpr5
	s_and_saveexec_b64 s[22:23], s[24:25]
	s_cbranch_execz .LBB10_16
; %bb.15:
	flat_load_dwordx2 v[2:3], v[0:1]
	s_or_b64 s[20:21], s[18:19], exec
	s_xor_b64 s[14:15], exec, -1
	s_waitcnt vmcnt(0) lgkmcnt(0)
	v_cvt_f64_u32_e32 v[4:5], v3
	v_cvt_f64_u32_e32 v[2:3], v2
	v_ldexp_f64 v[4:5], v[4:5], 32
	v_add_f64 v[4:5], v[4:5], v[2:3]
.LBB10_16:
	s_or_b64 exec, exec, s[22:23]
	s_andn2_b64 s[18:19], s[18:19], exec
	s_and_b64 s[20:21], s[20:21], exec
	s_andn2_b64 s[16:17], s[16:17], exec
	s_and_b64 s[14:15], s[14:15], exec
	s_or_b64 s[18:19], s[18:19], s[20:21]
	s_or_b64 s[16:17], s[16:17], s[14:15]
.LBB10_17:
	s_or_b64 exec, exec, s[12:13]
	s_and_b64 s[14:15], s[18:19], exec
	s_and_b64 s[12:13], s[16:17], exec
                                        ; implicit-def: $vgpr3
.LBB10_18:
	s_andn2_saveexec_b64 s[8:9], s[8:9]
	s_cbranch_execz .LBB10_34
; %bb.19:
	v_mov_b32_e32 v2, 26
	v_cmp_gt_i16_sdwa s[16:17], v3, v2 src0_sel:BYTE_0 src1_sel:DWORD
                                        ; implicit-def: $vgpr4_vgpr5
	s_and_saveexec_b64 s[18:19], s[16:17]
	s_xor_b64 s[16:17], exec, s[18:19]
	s_cbranch_execz .LBB10_25
; %bb.20:
	v_mov_b32_e32 v2, 27
	v_cmp_gt_i16_sdwa s[18:19], v3, v2 src0_sel:BYTE_0 src1_sel:DWORD
                                        ; implicit-def: $vgpr4_vgpr5
	s_and_saveexec_b64 s[20:21], s[18:19]
	s_xor_b64 s[18:19], exec, s[20:21]
	s_cbranch_execz .LBB10_22
; %bb.21:
	flat_load_dword v2, v[0:1]
	s_waitcnt vmcnt(0) lgkmcnt(0)
	v_cvt_f64_u32_e32 v[4:5], v2
.LBB10_22:
	s_andn2_saveexec_b64 s[18:19], s[18:19]
	s_cbranch_execz .LBB10_24
; %bb.23:
	flat_load_ushort v2, v[0:1]
	s_waitcnt vmcnt(0) lgkmcnt(0)
	v_cvt_f64_u32_e32 v[4:5], v2
.LBB10_24:
	s_or_b64 exec, exec, s[18:19]
.LBB10_25:
	s_andn2_saveexec_b64 s[16:17], s[16:17]
	s_cbranch_execz .LBB10_33
; %bb.26:
	flat_load_ubyte v2, v[0:1]
	s_movk_i32 s18, 0x7f
                                        ; implicit-def: $sgpr20_sgpr21
	s_waitcnt vmcnt(0) lgkmcnt(0)
	v_cmp_lt_i16_e32 vcc, s18, v2
	s_mov_b64 s[18:19], 0
	s_and_saveexec_b64 s[22:23], vcc
	s_xor_b64 s[22:23], exec, s[22:23]
	s_cbranch_execz .LBB10_122
; %bb.27:
	s_movk_i32 s18, 0x80
	v_cmp_eq_u16_e32 vcc, s18, v2
	s_mov_b64 s[24:25], -1
                                        ; implicit-def: $sgpr20_sgpr21
	s_and_saveexec_b64 s[18:19], vcc
; %bb.28:
	s_mov_b32 s21, 0x7ff80000
	s_brev_b32 s20, 4
	s_xor_b64 s[24:25], exec, -1
; %bb.29:
	s_or_b64 exec, exec, s[18:19]
	s_and_b64 s[18:19], s[24:25], exec
	s_or_saveexec_b64 s[22:23], s[22:23]
	v_pk_mov_b32 v[4:5], s[20:21], s[20:21] op_sel:[0,1]
	s_xor_b64 exec, exec, s[22:23]
	s_cbranch_execnz .LBB10_123
.LBB10_30:
	s_or_b64 exec, exec, s[22:23]
	s_and_saveexec_b64 s[20:21], s[18:19]
	s_cbranch_execz .LBB10_32
.LBB10_31:
	v_lshlrev_b32_e32 v3, 24, v2
	v_and_b32_e32 v2, 0xffff, v2
	v_and_b32_e32 v4, 7, v2
	v_ffbh_u32_e32 v6, v4
	v_min_u32_e32 v6, 32, v6
	v_subrev_u32_e32 v7, 28, v6
	v_bfe_u32 v5, v2, 3, 4
	v_lshlrev_b32_e32 v2, v7, v2
	v_sub_u32_e32 v6, 29, v6
	v_and_b32_e32 v2, 7, v2
	v_cmp_eq_u32_e32 vcc, 0, v5
	v_cndmask_b32_e32 v5, v5, v6, vcc
	v_cndmask_b32_e32 v2, v4, v2, vcc
	v_mov_b32_e32 v4, 0x3b800000
	v_lshlrev_b32_e32 v2, 20, v2
	v_and_b32_e32 v3, 0x80000000, v3
	v_lshl_add_u32 v4, v5, 23, v4
	v_or3_b32 v2, v3, v4, v2
	v_cvt_f64_f32_e32 v[4:5], v2
.LBB10_32:
	s_or_b64 exec, exec, s[20:21]
.LBB10_33:
	s_or_b64 exec, exec, s[16:17]
	s_or_b64 s[14:15], s[14:15], exec
.LBB10_34:
	s_or_b64 exec, exec, s[8:9]
	s_and_b64 s[8:9], s[14:15], exec
	s_and_b64 s[12:13], s[12:13], exec
                                        ; implicit-def: $vgpr3
	s_andn2_saveexec_b64 s[10:11], s[10:11]
	s_cbranch_execnz .LBB10_96
.LBB10_35:
	s_or_b64 exec, exec, s[10:11]
	s_and_saveexec_b64 s[10:11], s[12:13]
	s_cbranch_execnz .LBB10_121
.LBB10_36:
	s_or_b64 exec, exec, s[10:11]
	s_and_saveexec_b64 s[10:11], s[6:7]
	s_xor_b64 s[6:7], exec, s[10:11]
	s_cbranch_execz .LBB10_38
.LBB10_37:
	flat_load_ubyte v0, v[0:1]
	v_mov_b32_e32 v1, 0x3ff00000
	v_mov_b32_e32 v4, 0
	s_or_b64 s[8:9], s[8:9], exec
	s_waitcnt vmcnt(0) lgkmcnt(0)
	v_cmp_ne_u16_e32 vcc, 0, v0
	v_cndmask_b32_e32 v5, 0, v1, vcc
.LBB10_38:
	s_or_b64 exec, exec, s[6:7]
	s_and_b64 s[8:9], s[8:9], exec
                                        ; implicit-def: $vgpr3
                                        ; implicit-def: $vgpr0_vgpr1
	s_andn2_saveexec_b64 s[4:5], s[4:5]
	s_cbranch_execnz .LBB10_41
.LBB10_39:
	s_or_b64 exec, exec, s[4:5]
                                        ; implicit-def: $vgpr0_vgpr1
	s_and_saveexec_b64 s[6:7], s[8:9]
	s_cbranch_execnz .LBB10_82
	s_branch .LBB10_134
.LBB10_40:
	s_andn2_saveexec_b64 s[4:5], s[4:5]
	s_cbranch_execz .LBB10_39
.LBB10_41:
	v_mov_b32_e32 v2, 4
	v_cmp_gt_i16_sdwa s[6:7], v3, v2 src0_sel:BYTE_0 src1_sel:DWORD
                                        ; implicit-def: $vgpr4_vgpr5
	s_and_saveexec_b64 s[10:11], s[6:7]
	s_xor_b64 s[6:7], exec, s[10:11]
	s_cbranch_execz .LBB10_63
; %bb.42:
	v_mov_b32_e32 v2, 7
	v_cmp_gt_i16_sdwa s[10:11], v3, v2 src0_sel:BYTE_0 src1_sel:DWORD
                                        ; implicit-def: $vgpr4_vgpr5
	s_and_saveexec_b64 s[12:13], s[10:11]
	s_xor_b64 s[10:11], exec, s[12:13]
	s_cbranch_execz .LBB10_52
; %bb.43:
	;; [unrolled: 7-line block ×4, first 2 shown]
	flat_load_dwordx2 v[4:5], v[0:1]
                                        ; implicit-def: $vgpr0_vgpr1
.LBB10_46:
	s_andn2_saveexec_b64 s[14:15], s[14:15]
	s_cbranch_execz .LBB10_48
; %bb.47:
	flat_load_dword v0, v[0:1]
	s_waitcnt vmcnt(0) lgkmcnt(0)
	v_cvt_f64_f32_e32 v[4:5], v0
.LBB10_48:
	s_or_b64 exec, exec, s[14:15]
                                        ; implicit-def: $vgpr0_vgpr1
.LBB10_49:
	s_andn2_saveexec_b64 s[12:13], s[12:13]
	s_cbranch_execz .LBB10_51
; %bb.50:
	flat_load_dword v0, v[0:1]
	s_waitcnt vmcnt(0) lgkmcnt(0)
	v_cvt_f32_f16_e32 v0, v0
	v_cvt_f64_f32_e32 v[4:5], v0
.LBB10_51:
	s_or_b64 exec, exec, s[12:13]
                                        ; implicit-def: $vgpr0_vgpr1
                                        ; implicit-def: $vgpr3
.LBB10_52:
	s_andn2_saveexec_b64 s[10:11], s[10:11]
	s_cbranch_execz .LBB10_62
; %bb.53:
	v_mov_b32_e32 v2, 5
	v_cmp_gt_i16_sdwa s[12:13], v3, v2 src0_sel:BYTE_0 src1_sel:DWORD
                                        ; implicit-def: $vgpr4_vgpr5
	s_and_saveexec_b64 s[14:15], s[12:13]
	s_xor_b64 s[12:13], exec, s[14:15]
	s_cbranch_execz .LBB10_59
; %bb.54:
	v_mov_b32_e32 v2, 6
	v_cmp_gt_i16_sdwa s[14:15], v3, v2 src0_sel:BYTE_0 src1_sel:DWORD
                                        ; implicit-def: $vgpr4_vgpr5
	s_and_saveexec_b64 s[16:17], s[14:15]
	s_xor_b64 s[14:15], exec, s[16:17]
	s_cbranch_execz .LBB10_56
; %bb.55:
	s_waitcnt vmcnt(0) lgkmcnt(0)
	flat_load_dwordx2 v[4:5], v[0:1]
                                        ; implicit-def: $vgpr0_vgpr1
.LBB10_56:
	s_andn2_saveexec_b64 s[14:15], s[14:15]
	s_cbranch_execz .LBB10_58
; %bb.57:
	flat_load_dword v0, v[0:1]
	s_waitcnt vmcnt(0) lgkmcnt(0)
	v_cvt_f64_f32_e32 v[4:5], v0
.LBB10_58:
	s_or_b64 exec, exec, s[14:15]
                                        ; implicit-def: $vgpr0_vgpr1
.LBB10_59:
	s_andn2_saveexec_b64 s[12:13], s[12:13]
	s_cbranch_execz .LBB10_61
; %bb.60:
	flat_load_ushort v0, v[0:1]
	s_waitcnt vmcnt(0) lgkmcnt(0)
	v_cvt_f32_f16_e32 v0, v0
	v_cvt_f64_f32_e32 v[4:5], v0
.LBB10_61:
	s_or_b64 exec, exec, s[12:13]
.LBB10_62:
	s_or_b64 exec, exec, s[10:11]
                                        ; implicit-def: $vgpr3
                                        ; implicit-def: $vgpr0_vgpr1
.LBB10_63:
	s_andn2_saveexec_b64 s[6:7], s[6:7]
	s_cbranch_execz .LBB10_81
; %bb.64:
	v_mov_b32_e32 v2, 1
	v_cmp_gt_i16_sdwa s[10:11], v3, v2 src0_sel:BYTE_0 src1_sel:DWORD
                                        ; implicit-def: $vgpr4_vgpr5
	s_and_saveexec_b64 s[12:13], s[10:11]
	s_xor_b64 s[10:11], exec, s[12:13]
	s_cbranch_execz .LBB10_74
; %bb.65:
	v_mov_b32_e32 v2, 2
	v_cmp_gt_i16_sdwa s[12:13], v3, v2 src0_sel:BYTE_0 src1_sel:DWORD
                                        ; implicit-def: $vgpr4_vgpr5
	s_and_saveexec_b64 s[14:15], s[12:13]
	s_xor_b64 s[12:13], exec, s[14:15]
	;; [unrolled: 7-line block ×3, first 2 shown]
	s_cbranch_execz .LBB10_68
; %bb.67:
	flat_load_dwordx2 v[0:1], v[0:1]
	s_waitcnt vmcnt(0) lgkmcnt(0)
	v_cvt_f64_i32_e32 v[2:3], v1
	v_ldexp_f64 v[2:3], v[2:3], 32
	v_cvt_f64_u32_e32 v[0:1], v0
	v_add_f64 v[4:5], v[2:3], v[0:1]
                                        ; implicit-def: $vgpr0_vgpr1
.LBB10_68:
	s_andn2_saveexec_b64 s[14:15], s[14:15]
	s_cbranch_execz .LBB10_70
; %bb.69:
	flat_load_dword v0, v[0:1]
	s_waitcnt vmcnt(0) lgkmcnt(0)
	v_cvt_f64_i32_e32 v[4:5], v0
.LBB10_70:
	s_or_b64 exec, exec, s[14:15]
                                        ; implicit-def: $vgpr0_vgpr1
.LBB10_71:
	s_andn2_saveexec_b64 s[12:13], s[12:13]
	s_cbranch_execz .LBB10_73
; %bb.72:
	flat_load_sshort v0, v[0:1]
	s_waitcnt vmcnt(0) lgkmcnt(0)
	v_cvt_f64_i32_e32 v[4:5], v0
.LBB10_73:
	s_or_b64 exec, exec, s[12:13]
                                        ; implicit-def: $vgpr0_vgpr1
                                        ; implicit-def: $vgpr3
.LBB10_74:
	s_andn2_saveexec_b64 s[10:11], s[10:11]
	s_cbranch_execz .LBB10_80
; %bb.75:
	v_mov_b32_e32 v2, 0
	v_cmp_gt_i16_sdwa s[12:13], v3, v2 src0_sel:BYTE_0 src1_sel:DWORD
                                        ; implicit-def: $vgpr4_vgpr5
	s_and_saveexec_b64 s[14:15], s[12:13]
	s_xor_b64 s[12:13], exec, s[14:15]
	s_cbranch_execz .LBB10_77
; %bb.76:
	flat_load_sbyte v0, v[0:1]
	s_waitcnt vmcnt(0) lgkmcnt(0)
	v_cvt_f64_i32_e32 v[4:5], v0
                                        ; implicit-def: $vgpr0_vgpr1
.LBB10_77:
	s_andn2_saveexec_b64 s[12:13], s[12:13]
	s_cbranch_execz .LBB10_79
; %bb.78:
	flat_load_ubyte v0, v[0:1]
	s_waitcnt vmcnt(0) lgkmcnt(0)
	v_cvt_f64_u32_e32 v[4:5], v0
.LBB10_79:
	s_or_b64 exec, exec, s[12:13]
.LBB10_80:
	s_or_b64 exec, exec, s[10:11]
.LBB10_81:
	s_or_b64 exec, exec, s[6:7]
	s_or_b64 s[8:9], s[8:9], exec
	s_or_b64 exec, exec, s[4:5]
                                        ; implicit-def: $vgpr0_vgpr1
	s_and_saveexec_b64 s[6:7], s[8:9]
	s_cbranch_execz .LBB10_134
.LBB10_82:
	s_mov_b32 s4, 0
	s_mov_b32 s5, 0x7ff00000
	v_mov_b32_e32 v0, 0
	s_waitcnt vmcnt(0) lgkmcnt(0)
	v_cmp_neq_f64_e64 s[4:5], |v[4:5]|, s[4:5]
	v_mov_b32_e32 v1, 0x7ff80000
	s_and_saveexec_b64 s[8:9], s[4:5]
	s_cbranch_execz .LBB10_133
; %bb.83:
	s_mov_b32 s4, 0x872b020c
	s_mov_b32 s5, 0x4059f916
	v_cmp_nlt_f64_e32 vcc, s[4:5], v[4:5]
	v_pk_mov_b32 v[0:1], 0, 0
	s_and_saveexec_b64 s[10:11], vcc
	s_cbranch_execz .LBB10_132
; %bb.84:
	s_mov_b32 s5, 0xc000b851
	s_mov_b32 s4, 0xeb851eb8
	v_cmp_ngt_f64_e32 vcc, s[4:5], v[4:5]
                                        ; implicit-def: $vgpr0_vgpr1
	s_and_saveexec_b64 s[12:13], vcc
	s_xor_b64 s[12:13], exec, s[12:13]
	s_cbranch_execz .LBB10_92
; %bb.85:
	s_mov_b32 s5, 0x4000b851
	v_cmp_nle_f64_e64 s[14:15], s[4:5], v[4:5]
	v_cmp_le_f64_e32 vcc, s[4:5], v[4:5]
	v_pk_mov_b32 v[0:1], 0, 0
	s_mov_b64 s[4:5], s[14:15]
	s_and_saveexec_b64 s[16:17], vcc
	s_cbranch_execz .LBB10_87
; %bb.86:
	s_mov_b32 s4, 0
	s_brev_b32 s5, 8
	v_cmp_gt_f64_e32 vcc, s[4:5], v[4:5]
	v_cndmask_b32_e64 v0, 0, 1, vcc
	v_lshlrev_b32_e32 v0, 8, v0
	v_ldexp_f64 v[0:1], v[4:5], v0
	v_rsq_f64_e32 v[2:3], v[0:1]
	v_add_f64 v[6:7], v[4:5], v[4:5]
	s_mov_b32 s18, 0
	s_mov_b32 s19, 0x40080000
	v_mul_f64 v[10:11], v[0:1], v[2:3]
	v_mul_f64 v[2:3], v[2:3], 0.5
	v_fma_f64 v[8:9], -v[2:3], v[10:11], 0.5
	v_fmac_f64_e32 v[10:11], v[10:11], v[8:9]
	v_fma_f64 v[12:13], -v[10:11], v[10:11], v[0:1]
	v_fmac_f64_e32 v[2:3], v[2:3], v[8:9]
	v_fmac_f64_e32 v[10:11], v[12:13], v[2:3]
	v_fma_f64 v[8:9], -v[10:11], v[10:11], v[0:1]
	v_fmac_f64_e32 v[10:11], v[8:9], v[2:3]
	v_mov_b32_e32 v8, 0xffffff80
	v_cndmask_b32_e32 v2, 0, v8, vcc
	v_mov_b32_e32 v9, 0x260
	v_ldexp_f64 v[2:3], v[10:11], v2
	v_cmp_class_f64_e32 vcc, v[0:1], v9
	v_cndmask_b32_e32 v3, v3, v1, vcc
	v_cndmask_b32_e32 v2, v2, v0, vcc
	v_mul_f64 v[0:1], v[6:7], v[2:3]
	v_div_scale_f64 v[6:7], s[20:21], s[18:19], s[18:19], v[0:1]
	v_rcp_f64_e32 v[10:11], v[6:7]
	v_fma_f64 v[12:13], -v[6:7], v[10:11], 1.0
	v_fmac_f64_e32 v[10:11], v[10:11], v[12:13]
	v_fma_f64 v[12:13], -v[6:7], v[10:11], 1.0
	v_fmac_f64_e32 v[10:11], v[10:11], v[12:13]
	v_div_scale_f64 v[12:13], vcc, v[0:1], s[18:19], v[0:1]
	v_mul_f64 v[14:15], v[12:13], v[10:11]
	v_fma_f64 v[6:7], -v[6:7], v[14:15], v[12:13]
	s_nop 1
	v_div_fmas_f64 v[6:7], v[6:7], v[10:11], v[14:15]
	v_div_fixup_f64 v[0:1], v[6:7], s[18:19], v[0:1]
	v_div_scale_f64 v[6:7], s[18:19], v[0:1], v[0:1], 1.0
	v_rcp_f64_e32 v[10:11], v[6:7]
	v_fma_f64 v[12:13], -v[6:7], v[10:11], 1.0
	v_fmac_f64_e32 v[10:11], v[10:11], v[12:13]
	v_fma_f64 v[12:13], -v[6:7], v[10:11], 1.0
	v_fmac_f64_e32 v[10:11], v[10:11], v[12:13]
	v_div_scale_f64 v[12:13], vcc, 1.0, v[0:1], 1.0
	v_mul_f64 v[14:15], v[12:13], v[10:11]
	v_fma_f64 v[6:7], -v[6:7], v[14:15], v[12:13]
	v_mov_b32_e32 v12, 0x871a9067
	s_nop 0
	v_div_fmas_f64 v[6:7], v[6:7], v[10:11], v[14:15]
	v_div_fixup_f64 v[6:7], v[6:7], v[0:1], 1.0
	v_mov_b32_e32 v10, 0x2537b658
	v_mov_b32_e32 v11, 0x3fd62dae
	v_fmac_f64_e32 v[10:11], 0, v[6:7]
	v_mov_b32_e32 v13, 0x402803e3
	v_fmac_f64_e32 v[12:13], v[6:7], v[10:11]
	v_mov_b32_e32 v10, 0xde2e1e3
	v_mov_b32_e32 v11, 0x405311e5
	v_fmac_f64_e32 v[10:11], v[6:7], v[12:13]
	v_mov_b32_e32 v12, 0xee40073c
	v_mov_b32_e32 v13, 0x406502da
	v_fmac_f64_e32 v[12:13], v[6:7], v[10:11]
	v_mov_b32_e32 v10, 0x5ba1fddf
	v_mov_b32_e32 v11, 0x4063f834
	v_fmac_f64_e32 v[10:11], v[6:7], v[12:13]
	v_mov_b32_e32 v12, 0x4f4cea4f
	v_mov_b32_e32 v13, 0x4051a24f
	v_fmac_f64_e32 v[12:13], v[6:7], v[10:11]
	v_mov_b32_e32 v10, 0x5c2a0f4d
	v_mov_b32_e32 v11, 0x402c0d8d
	v_fmac_f64_e32 v[10:11], v[6:7], v[12:13]
	v_mov_b32_e32 v12, 0x2624d31
	v_mov_b32_e32 v13, 0x3fe229bc
	v_fmac_f64_e32 v[12:13], 0, v[6:7]
	v_mov_b32_e32 v14, 0x5332ca5
	v_mov_b32_e32 v15, 0x402d8334
	v_fmac_f64_e32 v[14:15], v[6:7], v[12:13]
	v_mov_b32_e32 v12, 0xb04d51a0
	v_mov_b32_e32 v13, 0x405520e3
	v_fmac_f64_e32 v[12:13], v[6:7], v[14:15]
	v_mov_b32_e32 v14, 0xc730b7b0
	v_mov_b32_e32 v15, 0x40662a2d
	v_fmac_f64_e32 v[14:15], v[6:7], v[12:13]
	v_mov_b32_e32 v12, 0x9a9ffa61
	v_mov_b32_e32 v13, 0x40648782
	v_fmac_f64_e32 v[12:13], v[6:7], v[14:15]
	v_mov_b32_e32 v14, 0xee91d35f
	v_mov_b32_e32 v15, 0x4051de94
	v_fmac_f64_e32 v[14:15], v[6:7], v[12:13]
	v_mov_b32_e32 v12, 0x950d9d81
	v_mov_b32_e32 v13, 0x402c311b
	v_fmac_f64_e32 v[12:13], v[6:7], v[14:15]
	v_fma_f64 v[12:13], v[6:7], v[12:13], 1.0
	v_fma_f64 v[6:7], v[6:7], v[10:11], 1.0
	v_div_scale_f64 v[10:11], s[18:19], v[12:13], v[12:13], v[6:7]
	v_rcp_f64_e32 v[14:15], v[10:11]
	v_fma_f64 v[16:17], -v[10:11], v[14:15], 1.0
	v_fmac_f64_e32 v[14:15], v[14:15], v[16:17]
	v_fma_f64 v[16:17], -v[10:11], v[14:15], 1.0
	v_fmac_f64_e32 v[14:15], v[14:15], v[16:17]
	v_div_scale_f64 v[16:17], vcc, v[6:7], v[12:13], v[6:7]
	v_mul_f64 v[18:19], v[16:17], v[14:15]
	v_fma_f64 v[10:11], -v[10:11], v[18:19], v[16:17]
	s_nop 1
	v_div_fmas_f64 v[10:11], v[10:11], v[14:15], v[18:19]
	v_cmp_gt_f64_e32 vcc, s[4:5], v[2:3]
	v_div_fixup_f64 v[6:7], v[10:11], v[12:13], v[6:7]
	v_cndmask_b32_e64 v10, 0, 1, vcc
	v_lshlrev_b32_e32 v10, 8, v10
	v_ldexp_f64 v[10:11], v[2:3], v10
	v_rsq_f64_e32 v[12:13], v[10:11]
	s_mov_b32 s4, 0x50429b6d
	s_mov_b32 s5, 0x3fe20dd7
	v_mul_f64 v[2:3], v[6:7], s[4:5]
	v_mul_f64 v[6:7], v[10:11], v[12:13]
	v_mul_f64 v[12:13], v[12:13], 0.5
	v_fma_f64 v[14:15], -v[12:13], v[6:7], 0.5
	v_fmac_f64_e32 v[6:7], v[6:7], v[14:15]
	v_fma_f64 v[16:17], -v[6:7], v[6:7], v[10:11]
	v_fmac_f64_e32 v[12:13], v[12:13], v[14:15]
	v_fmac_f64_e32 v[6:7], v[16:17], v[12:13]
	v_fma_f64 v[14:15], -v[6:7], v[6:7], v[10:11]
	s_mov_b32 s4, 0x652b82fe
	v_fmac_f64_e32 v[6:7], v[14:15], v[12:13]
	v_cndmask_b32_e32 v8, 0, v8, vcc
	s_mov_b32 s5, 0x3ff71547
	v_ldexp_f64 v[6:7], v[6:7], v8
	v_cmp_class_f64_e32 vcc, v[10:11], v9
	v_mul_f64 v[8:9], v[0:1], s[4:5]
	s_mov_b32 s4, 0xfefa39ef
	v_rndne_f64_e32 v[8:9], v[8:9]
	s_mov_b32 s5, 0xbfe62e42
	v_cndmask_b32_e32 v7, v7, v11, vcc
	v_cndmask_b32_e32 v6, v6, v10, vcc
	v_fma_f64 v[10:11], s[4:5], v[8:9], v[0:1]
	s_mov_b32 s4, 0x3b39803f
	s_mov_b32 s5, 0xbc7abc9e
	v_fmac_f64_e32 v[10:11], s[4:5], v[8:9]
	s_mov_b32 s4, 0x6a5dcb37
	v_mov_b32_e32 v12, 0xfca7ab0c
	v_mov_b32_e32 v13, 0x3e928af3
	s_mov_b32 s5, 0x3e5ade15
	v_fmac_f64_e32 v[12:13], s[4:5], v[10:11]
	v_mov_b32_e32 v14, 0x623fde64
	v_mov_b32_e32 v15, 0x3ec71dee
	v_fmac_f64_e32 v[14:15], v[10:11], v[12:13]
	v_mov_b32_e32 v12, 0x7c89e6b0
	v_mov_b32_e32 v13, 0x3efa0199
	;; [unrolled: 3-line block ×8, first 2 shown]
	s_mov_b32 s4, 0
	v_fmac_f64_e32 v[12:13], v[10:11], v[14:15]
	s_mov_b32 s5, 0x40900000
	v_fma_f64 v[12:13], v[10:11], v[12:13], 1.0
	v_cmp_nlt_f64_e32 vcc, s[4:5], v[0:1]
	s_mov_b32 s4, 0
	v_fma_f64 v[10:11], v[10:11], v[12:13], 1.0
	v_cvt_i32_f64_e32 v8, v[8:9]
	s_mov_b32 s5, 0xc090cc00
	v_ldexp_f64 v[8:9], v[10:11], v8
	v_mov_b32_e32 v10, 0x7ff00000
	v_cmp_ngt_f64_e64 s[4:5], s[4:5], v[0:1]
	v_cndmask_b32_e32 v9, v10, v9, vcc
	s_and_b64 vcc, s[4:5], vcc
	v_add_f64 v[6:7], v[6:7], v[6:7]
	v_cndmask_b32_e64 v1, 0, v9, s[4:5]
	v_cndmask_b32_e32 v0, 0, v8, vcc
	v_mul_f64 v[0:1], v[6:7], v[0:1]
	v_div_scale_f64 v[6:7], s[4:5], v[0:1], v[0:1], v[2:3]
	v_rcp_f64_e32 v[8:9], v[6:7]
	s_mov_b32 s4, 0xfd0a823a
	s_mov_b32 s5, 0x4020a402
	v_fma_f64 v[10:11], -v[6:7], v[8:9], 1.0
	v_fmac_f64_e32 v[8:9], v[8:9], v[10:11]
	v_fma_f64 v[10:11], -v[6:7], v[8:9], 1.0
	v_fmac_f64_e32 v[8:9], v[8:9], v[10:11]
	v_div_scale_f64 v[10:11], vcc, v[2:3], v[0:1], v[2:3]
	v_mul_f64 v[12:13], v[10:11], v[8:9]
	v_fma_f64 v[6:7], -v[6:7], v[12:13], v[10:11]
	s_nop 1
	v_div_fmas_f64 v[6:7], v[6:7], v[8:9], v[12:13]
	v_cmp_nlt_f64_e32 vcc, s[4:5], v[4:5]
	s_andn2_b64 s[4:5], s[14:15], exec
	s_and_b64 s[18:19], vcc, exec
	v_div_fixup_f64 v[0:1], v[6:7], v[0:1], v[2:3]
	s_or_b64 s[4:5], s[4:5], s[18:19]
.LBB10_87:
	s_or_b64 exec, exec, s[16:17]
	s_and_saveexec_b64 s[16:17], s[4:5]
	s_cbranch_execz .LBB10_91
; %bb.88:
	v_mov_b32_e32 v12, 0
	v_mul_f64 v[2:3], v[4:5], v[4:5]
	v_mov_b32_e32 v13, 0x3ff00000
	s_mov_b32 s20, 0
	v_mul_f64 v[6:7], v[4:5], v[2:3]
	s_mov_b64 s[18:19], 0
	s_mov_b32 s21, 0x3cb00000
	v_pk_mov_b32 v[10:11], v[12:13], v[12:13] op_sel:[0,1]
	v_pk_mov_b32 v[8:9], v[4:5], v[4:5] op_sel:[0,1]
	;; [unrolled: 1-line block ×3, first 2 shown]
.LBB10_89:                              ; =>This Inner Loop Header: Depth=1
	v_mul_f64 v[12:13], v[6:7], v[12:13]
	v_add_f64 v[14:15], v[10:11], 1.0
	v_mul_f64 v[16:17], v[6:7], v[4:5]
	v_div_scale_f64 v[18:19], s[4:5], v[14:15], v[14:15], v[12:13]
	v_add_f64 v[4:5], v[14:15], 1.0
	v_rcp_f64_e32 v[22:23], v[18:19]
	v_div_scale_f64 v[24:25], s[4:5], v[4:5], v[4:5], v[16:17]
	v_rcp_f64_e32 v[28:29], v[24:25]
	v_fma_f64 v[30:31], -v[18:19], v[22:23], 1.0
	v_fmac_f64_e32 v[22:23], v[22:23], v[30:31]
	v_fma_f64 v[32:33], -v[18:19], v[22:23], 1.0
	v_fma_f64 v[30:31], -v[24:25], v[28:29], 1.0
	v_fmac_f64_e32 v[28:29], v[28:29], v[30:31]
	v_div_scale_f64 v[20:21], vcc, v[12:13], v[14:15], v[12:13]
	v_fmac_f64_e32 v[22:23], v[22:23], v[32:33]
	v_fma_f64 v[30:31], -v[24:25], v[28:29], 1.0
	v_div_scale_f64 v[26:27], s[4:5], v[16:17], v[4:5], v[16:17]
	v_mul_f64 v[32:33], v[20:21], v[22:23]
	v_fmac_f64_e32 v[28:29], v[28:29], v[30:31]
	v_fma_f64 v[18:19], -v[18:19], v[32:33], v[20:21]
	v_mul_f64 v[20:21], v[26:27], v[28:29]
	v_div_fmas_f64 v[18:19], v[18:19], v[22:23], v[32:33]
	v_fma_f64 v[22:23], -v[24:25], v[20:21], v[26:27]
	s_mov_b64 vcc, s[4:5]
	v_div_fixup_f64 v[12:13], v[18:19], v[14:15], v[12:13]
	v_div_fmas_f64 v[14:15], v[22:23], v[28:29], v[20:21]
	v_div_fixup_f64 v[14:15], v[14:15], v[4:5], v[16:17]
	v_div_scale_f64 v[16:17], s[4:5], v[4:5], v[4:5], v[12:13]
	v_add_f64 v[10:11], v[4:5], 1.0
	v_rcp_f64_e32 v[20:21], v[16:17]
	v_div_scale_f64 v[22:23], s[4:5], v[10:11], v[10:11], v[14:15]
	v_rcp_f64_e32 v[26:27], v[22:23]
	v_fma_f64 v[28:29], -v[16:17], v[20:21], 1.0
	v_fmac_f64_e32 v[20:21], v[20:21], v[28:29]
	v_fma_f64 v[30:31], -v[16:17], v[20:21], 1.0
	v_fma_f64 v[28:29], -v[22:23], v[26:27], 1.0
	v_div_scale_f64 v[18:19], vcc, v[12:13], v[4:5], v[12:13]
	v_fmac_f64_e32 v[26:27], v[26:27], v[28:29]
	v_fmac_f64_e32 v[20:21], v[20:21], v[30:31]
	v_fma_f64 v[28:29], -v[22:23], v[26:27], 1.0
	v_mul_f64 v[30:31], v[18:19], v[20:21]
	v_div_scale_f64 v[24:25], s[4:5], v[14:15], v[10:11], v[14:15]
	v_fmac_f64_e32 v[26:27], v[26:27], v[28:29]
	v_fma_f64 v[16:17], -v[16:17], v[30:31], v[18:19]
	v_mul_f64 v[18:19], v[24:25], v[26:27]
	v_div_fmas_f64 v[16:17], v[16:17], v[20:21], v[30:31]
	v_fma_f64 v[20:21], -v[22:23], v[18:19], v[24:25]
	v_div_fixup_f64 v[12:13], v[16:17], v[4:5], v[12:13]
	s_mov_b64 vcc, s[4:5]
	v_div_fmas_f64 v[4:5], v[20:21], v[26:27], v[18:19]
	v_add_f64 v[2:3], v[2:3], v[12:13]
	v_div_fixup_f64 v[4:5], v[4:5], v[10:11], v[14:15]
	v_div_scale_f64 v[14:15], s[4:5], v[2:3], v[2:3], v[12:13]
	v_rcp_f64_e32 v[16:17], v[14:15]
	v_div_scale_f64 v[18:19], vcc, v[12:13], v[2:3], v[12:13]
	v_add_f64 v[8:9], v[8:9], v[4:5]
	v_fma_f64 v[20:21], -v[14:15], v[16:17], 1.0
	v_fmac_f64_e32 v[16:17], v[16:17], v[20:21]
	v_fma_f64 v[20:21], -v[14:15], v[16:17], 1.0
	v_fmac_f64_e32 v[16:17], v[16:17], v[20:21]
	v_mul_f64 v[20:21], v[18:19], v[16:17]
	v_fma_f64 v[14:15], -v[14:15], v[20:21], v[18:19]
	v_div_fmas_f64 v[14:15], v[14:15], v[16:17], v[20:21]
	v_div_fixup_f64 v[14:15], v[14:15], v[2:3], v[12:13]
	v_cmp_ngt_f64_e64 s[4:5], |v[14:15]|, s[20:21]
	s_or_b64 s[18:19], s[4:5], s[18:19]
	s_andn2_b64 exec, exec, s[18:19]
	s_cbranch_execnz .LBB10_89
; %bb.90:
	s_or_b64 exec, exec, s[18:19]
	s_mov_b32 s4, 0x42b70f8b
	s_mov_b32 s5, 0xbfd0907f
	v_mul_f64 v[4:5], v[8:9], s[4:5]
	s_mov_b32 s4, 0x962715b8
	s_mov_b32 s5, 0x3fd6b8c7
	v_fmac_f64_e32 v[4:5], s[4:5], v[2:3]
	v_cndmask_b32_e64 v1, v1, v5, s[14:15]
	v_cndmask_b32_e64 v0, v0, v4, s[14:15]
.LBB10_91:
	s_or_b64 exec, exec, s[16:17]
                                        ; implicit-def: $vgpr4_vgpr5
.LBB10_92:
	s_andn2_saveexec_b64 s[12:13], s[12:13]
	s_cbranch_execz .LBB10_131
; %bb.93:
	s_mov_b32 s4, 0
	s_brev_b32 s5, 9
	v_cmp_lt_f64_e32 vcc, s[4:5], v[4:5]
	v_cndmask_b32_e64 v0, 0, 1, vcc
	v_lshlrev_b32_e32 v0, 8, v0
	v_ldexp_f64 v[0:1], -v[4:5], v0
	v_rsq_f64_e32 v[2:3], v[0:1]
	v_mul_f64 v[4:5], v[4:5], -2.0
	s_mov_b32 s14, 0
	s_mov_b32 s15, 0x40080000
	v_mul_f64 v[6:7], v[0:1], v[2:3]
	v_mul_f64 v[2:3], v[2:3], 0.5
	v_fma_f64 v[8:9], -v[2:3], v[6:7], 0.5
	v_fmac_f64_e32 v[6:7], v[6:7], v[8:9]
	v_fma_f64 v[10:11], -v[6:7], v[6:7], v[0:1]
	v_fmac_f64_e32 v[2:3], v[2:3], v[8:9]
	v_fmac_f64_e32 v[6:7], v[10:11], v[2:3]
	v_fma_f64 v[8:9], -v[6:7], v[6:7], v[0:1]
	v_fmac_f64_e32 v[6:7], v[8:9], v[2:3]
	v_mov_b32_e32 v2, 0xffffff80
	v_cndmask_b32_e32 v2, 0, v2, vcc
	v_ldexp_f64 v[2:3], v[6:7], v2
	v_mov_b32_e32 v6, 0x260
	v_cmp_class_f64_e32 vcc, v[0:1], v6
	v_cndmask_b32_e32 v1, v3, v1, vcc
	v_cndmask_b32_e32 v0, v2, v0, vcc
	v_mul_f64 v[2:3], v[4:5], v[0:1]
	v_div_scale_f64 v[4:5], s[4:5], s[14:15], s[14:15], v[2:3]
	v_rcp_f64_e32 v[6:7], v[4:5]
	s_mov_b32 s17, 0x3fe921fb
	s_mov_b32 s16, 0x54442d18
	s_movk_i32 s4, 0xff80
	v_fma_f64 v[8:9], -v[4:5], v[6:7], 1.0
	v_fmac_f64_e32 v[6:7], v[6:7], v[8:9]
	v_fma_f64 v[8:9], -v[4:5], v[6:7], 1.0
	v_fmac_f64_e32 v[6:7], v[6:7], v[8:9]
	v_div_scale_f64 v[8:9], vcc, v[2:3], s[14:15], v[2:3]
	v_mul_f64 v[10:11], v[8:9], v[6:7]
	v_fma_f64 v[4:5], -v[4:5], v[10:11], v[8:9]
                                        ; implicit-def: $vgpr27
                                        ; implicit-def: $vgpr12_vgpr13
	s_nop 1
	v_div_fmas_f64 v[4:5], v[4:5], v[6:7], v[10:11]
	v_div_fixup_f64 v[8:9], v[4:5], s[14:15], v[2:3]
	s_mov_b32 s14, 0
	v_add_f64 v[2:3], v[8:9], s[16:17]
	s_mov_b32 s15, 0x41d00000
	v_cmp_nlt_f64_e64 s[14:15], |v[2:3]|, s[14:15]
	v_trig_preop_f64 v[18:19], |v[2:3]|, 0
	v_trig_preop_f64 v[16:17], |v[2:3]|, 1
	;; [unrolled: 1-line block ×3, first 2 shown]
                                        ; implicit-def: $vgpr10_vgpr11
	s_and_saveexec_b64 s[18:19], s[14:15]
	s_xor_b64 s[18:19], exec, s[18:19]
	s_cbranch_execz .LBB10_124
; %bb.94:
	s_mov_b32 s20, 0
	s_mov_b32 s21, 0x7b000000
	v_and_b32_e32 v6, 0x7fffffff, v3
	v_ldexp_f64 v[4:5], |v[2:3]|, s4
	v_cmp_ge_f64_e64 vcc, |v[2:3]|, s[20:21]
	v_cndmask_b32_e32 v5, v6, v5, vcc
	v_cndmask_b32_e32 v4, v2, v4, vcc
	v_mul_f64 v[10:11], v[18:19], v[4:5]
	v_mul_f64 v[6:7], v[16:17], v[4:5]
	v_fma_f64 v[12:13], v[18:19], v[4:5], -v[10:11]
	v_add_f64 v[20:21], v[6:7], v[12:13]
	v_add_f64 v[22:23], v[10:11], v[20:21]
	s_mov_b32 s4, 0
	v_ldexp_f64 v[24:25], v[22:23], -2
	s_mov_b32 s5, 0x7ff00000
	v_fract_f64_e32 v[26:27], v[24:25]
	v_cmp_neq_f64_e64 vcc, |v[24:25]|, s[4:5]
	v_cndmask_b32_e32 v25, 0, v27, vcc
	v_cndmask_b32_e32 v24, 0, v26, vcc
	v_add_f64 v[26:27], v[20:21], -v[6:7]
	v_add_f64 v[12:13], v[12:13], -v[26:27]
	;; [unrolled: 1-line block ×4, first 2 shown]
	v_add_f64 v[12:13], v[12:13], v[26:27]
	v_fma_f64 v[6:7], v[16:17], v[4:5], -v[6:7]
	v_mul_f64 v[26:27], v[14:15], v[4:5]
	v_add_f64 v[30:31], v[26:27], v[6:7]
	v_add_f64 v[32:33], v[30:31], v[12:13]
	v_add_f64 v[10:11], v[22:23], -v[10:11]
	v_add_f64 v[22:23], v[32:33], -v[30:31]
	;; [unrolled: 1-line block ×5, first 2 shown]
	v_add_f64 v[12:13], v[12:13], v[22:23]
	v_add_f64 v[22:23], v[30:31], -v[26:27]
	v_add_f64 v[6:7], v[6:7], -v[22:23]
	;; [unrolled: 1-line block ×5, first 2 shown]
	v_add_f64 v[20:21], v[10:11], v[32:33]
	v_add_f64 v[6:7], v[6:7], v[22:23]
	v_add_f64 v[10:11], v[20:21], -v[10:11]
	v_add_f64 v[6:7], v[6:7], v[12:13]
	v_fma_f64 v[4:5], v[14:15], v[4:5], -v[26:27]
	v_add_f64 v[10:11], v[32:33], -v[10:11]
	v_add_f64 v[4:5], v[4:5], v[6:7]
	v_ldexp_f64 v[6:7], v[24:25], 2
	v_add_f64 v[4:5], v[10:11], v[4:5]
	v_add_f64 v[10:11], v[20:21], v[6:7]
	v_mov_b32_e32 v12, 0x40100000
	v_cmp_gt_f64_e32 vcc, 0, v[10:11]
	v_mov_b32_e32 v28, 0
	v_cndmask_b32_e32 v29, 0, v12, vcc
	v_add_f64 v[6:7], v[6:7], v[28:29]
	v_add_f64 v[10:11], v[20:21], v[6:7]
	v_cvt_i32_f64_e32 v12, v[10:11]
	v_cvt_f64_i32_e32 v[10:11], v12
	v_add_f64 v[6:7], v[6:7], -v[10:11]
	v_add_f64 v[10:11], v[20:21], v[6:7]
	v_add_f64 v[6:7], v[10:11], -v[6:7]
	v_add_f64 v[6:7], v[20:21], -v[6:7]
	v_add_f64 v[4:5], v[4:5], v[6:7]
	v_cmp_le_f64_e32 vcc, 0.5, v[10:11]
	v_mov_b32_e32 v6, 0x3ff00000
	v_cndmask_b32_e32 v29, 0, v6, vcc
	v_add_f64 v[6:7], v[10:11], -v[28:29]
	v_add_f64 v[10:11], v[6:7], v[4:5]
	v_addc_co_u32_e64 v27, s[4:5], 0, v12, vcc
	v_add_f64 v[6:7], v[10:11], -v[6:7]
	s_mov_b32 s17, 0x3ff921fb
	v_add_f64 v[4:5], v[4:5], -v[6:7]
	v_mul_f64 v[6:7], v[10:11], s[16:17]
	s_mov_b32 s4, 0x33145c07
	v_fma_f64 v[12:13], v[10:11], s[16:17], -v[6:7]
	s_mov_b32 s5, 0x3c91a626
	v_fmac_f64_e32 v[12:13], s[4:5], v[10:11]
	v_fmac_f64_e32 v[12:13], s[16:17], v[4:5]
	v_add_f64 v[10:11], v[6:7], v[12:13]
	v_add_f64 v[4:5], v[10:11], -v[6:7]
	v_add_f64 v[12:13], v[12:13], -v[4:5]
	s_andn2_saveexec_b64 s[4:5], s[18:19]
	s_cbranch_execz .LBB10_126
	s_branch .LBB10_125
.LBB10_95:
	s_andn2_saveexec_b64 s[10:11], s[10:11]
	s_cbranch_execz .LBB10_35
.LBB10_96:
	v_mov_b32_e32 v2, 22
	v_cmp_gt_i16_sdwa s[6:7], v3, v2 src0_sel:BYTE_0 src1_sel:DWORD
	s_mov_b64 s[14:15], s[8:9]
                                        ; implicit-def: $vgpr4_vgpr5
	s_and_saveexec_b64 s[16:17], s[6:7]
	s_xor_b64 s[6:7], exec, s[16:17]
	s_cbranch_execz .LBB10_112
; %bb.97:
	v_mov_b32_e32 v2, 23
	v_cmp_gt_i16_sdwa s[14:15], v3, v2 src0_sel:BYTE_0 src1_sel:DWORD
                                        ; implicit-def: $vgpr4_vgpr5
	s_and_saveexec_b64 s[16:17], s[14:15]
	s_xor_b64 s[14:15], exec, s[16:17]
	s_cbranch_execz .LBB10_109
; %bb.98:
	v_mov_b32_e32 v2, 24
	v_cmp_gt_i16_sdwa s[16:17], v3, v2 src0_sel:BYTE_0 src1_sel:DWORD
                                        ; implicit-def: $vgpr4_vgpr5
	s_and_saveexec_b64 s[18:19], s[16:17]
	s_xor_b64 s[16:17], exec, s[18:19]
	s_cbranch_execz .LBB10_106
; %bb.99:
	flat_load_ubyte v2, v[0:1]
	s_movk_i32 s18, 0x7f
                                        ; implicit-def: $sgpr20_sgpr21
	s_waitcnt vmcnt(0) lgkmcnt(0)
	v_cmp_lt_i16_e32 vcc, s18, v2
	s_mov_b64 s[18:19], 0
	s_and_saveexec_b64 s[22:23], vcc
	s_xor_b64 s[22:23], exec, s[22:23]
	s_cbranch_execz .LBB10_135
; %bb.100:
	s_movk_i32 s18, 0x80
	v_cmp_eq_u16_e32 vcc, s18, v2
	s_mov_b64 s[24:25], -1
                                        ; implicit-def: $sgpr20_sgpr21
	s_and_saveexec_b64 s[18:19], vcc
; %bb.101:
	s_mov_b32 s21, 0x7ff80000
	s_brev_b32 s20, 4
	s_xor_b64 s[24:25], exec, -1
; %bb.102:
	s_or_b64 exec, exec, s[18:19]
	s_and_b64 s[18:19], s[24:25], exec
	s_or_saveexec_b64 s[22:23], s[22:23]
	v_pk_mov_b32 v[4:5], s[20:21], s[20:21] op_sel:[0,1]
	s_xor_b64 exec, exec, s[22:23]
	s_cbranch_execnz .LBB10_136
.LBB10_103:
	s_or_b64 exec, exec, s[22:23]
	s_and_saveexec_b64 s[20:21], s[18:19]
	s_cbranch_execz .LBB10_105
.LBB10_104:
	v_lshlrev_b32_e32 v3, 24, v2
	v_and_b32_e32 v2, 0xffff, v2
	v_and_b32_e32 v4, 3, v2
	v_ffbh_u32_e32 v6, v4
	v_min_u32_e32 v6, 32, v6
	v_subrev_u32_e32 v7, 29, v6
	v_bfe_u32 v5, v2, 2, 5
	v_lshlrev_b32_e32 v2, v7, v2
	v_sub_u32_e32 v6, 30, v6
	v_and_b32_e32 v2, 3, v2
	v_cmp_eq_u32_e32 vcc, 0, v5
	v_cndmask_b32_e32 v5, v5, v6, vcc
	v_cndmask_b32_e32 v2, v4, v2, vcc
	v_mov_b32_e32 v4, 0x37800000
	v_lshlrev_b32_e32 v2, 21, v2
	v_and_b32_e32 v3, 0x80000000, v3
	v_lshl_add_u32 v4, v5, 23, v4
	v_or3_b32 v2, v3, v4, v2
	v_cvt_f64_f32_e32 v[4:5], v2
.LBB10_105:
	s_or_b64 exec, exec, s[20:21]
.LBB10_106:
	s_andn2_saveexec_b64 s[16:17], s[16:17]
	s_cbranch_execz .LBB10_108
; %bb.107:
	flat_load_ubyte v2, v[0:1]
	s_mov_b32 s18, 0x7f800000
	s_waitcnt vmcnt(0) lgkmcnt(0)
	v_lshlrev_b32_e32 v2, 24, v2
	v_and_b32_e32 v3, 0x7f000000, v2
	v_ffbh_u32_e32 v4, v3
	v_min_u32_e32 v4, 32, v4
	v_sub_u32_e64 v4, v4, 4 clamp
	v_lshlrev_b32_e32 v6, v4, v3
	v_lshlrev_b32_e32 v4, 23, v4
	v_lshrrev_b32_e32 v6, 4, v6
	v_add_u32_e32 v5, 0x1000000, v3
	v_sub_u32_e32 v4, v6, v4
	v_ashrrev_i32_e32 v5, 8, v5
	v_add_u32_e32 v4, 0x3c000000, v4
	v_and_or_b32 v4, v5, s18, v4
	v_cmp_ne_u32_e32 vcc, 0, v3
	v_cndmask_b32_e32 v3, 0, v4, vcc
	s_brev_b32 s18, 1
	v_and_or_b32 v2, v2, s18, v3
	v_cvt_f64_f32_e32 v[4:5], v2
.LBB10_108:
	s_or_b64 exec, exec, s[16:17]
.LBB10_109:
	s_andn2_saveexec_b64 s[14:15], s[14:15]
	s_cbranch_execz .LBB10_111
; %bb.110:
	flat_load_ubyte v2, v[0:1]
	s_movk_i32 s16, 0x7f00
	s_brev_b32 s17, 16
	s_waitcnt vmcnt(0) lgkmcnt(0)
	v_lshlrev_b16_e32 v3, 8, v2
	v_lshlrev_b32_e32 v2, 25, v2
	v_lshrrev_b32_e32 v4, 4, v2
	v_and_or_b32 v5, v3, s16, 0.5
	v_or_b32_e32 v4, 0x70000000, v4
	v_add_f32_e32 v5, -0.5, v5
	v_mul_f32_e32 v4, 0x7800000, v4
	v_cmp_gt_u32_e32 vcc, s17, v2
	v_bfe_i32 v3, v3, 0, 16
	v_cndmask_b32_e32 v2, v4, v5, vcc
	s_brev_b32 s16, 1
	v_and_or_b32 v2, v3, s16, v2
	v_cvt_f64_f32_e32 v[4:5], v2
.LBB10_111:
	s_or_b64 exec, exec, s[14:15]
	s_or_b64 s[14:15], s[8:9], exec
                                        ; implicit-def: $vgpr3
.LBB10_112:
	s_or_saveexec_b64 s[6:7], s[6:7]
	s_mov_b64 s[18:19], 0
	s_mov_b64 s[16:17], s[12:13]
	s_xor_b64 exec, exec, s[6:7]
	s_cbranch_execz .LBB10_120
; %bb.113:
	v_mov_b32_e32 v2, 14
	v_cmp_gt_i16_sdwa s[20:21], v3, v2 src0_sel:BYTE_0 src1_sel:DWORD
	s_mov_b64 s[16:17], s[12:13]
	s_mov_b64 s[18:19], s[14:15]
                                        ; implicit-def: $vgpr4_vgpr5
	s_and_saveexec_b64 s[22:23], s[20:21]
	s_xor_b64 s[20:21], exec, s[22:23]
	s_cbranch_execz .LBB10_117
; %bb.114:
	v_mov_b32_e32 v2, 15
	v_cmp_eq_u16_sdwa s[24:25], v3, v2 src0_sel:BYTE_0 src1_sel:DWORD
	s_mov_b64 s[16:17], -1
	s_mov_b64 s[18:19], s[14:15]
                                        ; implicit-def: $vgpr4_vgpr5
	s_and_saveexec_b64 s[22:23], s[24:25]
	s_cbranch_execz .LBB10_116
; %bb.115:
	flat_load_ushort v2, v[0:1]
	s_or_b64 s[18:19], s[14:15], exec
	s_xor_b64 s[16:17], exec, -1
	s_waitcnt vmcnt(0) lgkmcnt(0)
	v_lshlrev_b32_e32 v2, 16, v2
	v_cvt_f64_f32_e32 v[4:5], v2
.LBB10_116:
	s_or_b64 exec, exec, s[22:23]
	s_andn2_b64 s[22:23], s[14:15], exec
	s_and_b64 s[18:19], s[18:19], exec
	s_or_b64 s[18:19], s[22:23], s[18:19]
	s_andn2_b64 s[22:23], s[12:13], exec
	s_and_b64 s[16:17], s[16:17], exec
	s_or_b64 s[16:17], s[22:23], s[16:17]
                                        ; implicit-def: $vgpr3
.LBB10_117:
	s_or_saveexec_b64 s[20:21], s[20:21]
	s_mov_b64 s[22:23], 0
	s_xor_b64 exec, exec, s[20:21]
; %bb.118:
	v_mov_b32_e32 v2, 11
	v_cmp_ne_u16_sdwa s[24:25], v3, v2 src0_sel:BYTE_0 src1_sel:DWORD
	s_andn2_b64 s[16:17], s[16:17], exec
	s_and_b64 s[24:25], s[24:25], exec
	s_mov_b64 s[22:23], exec
	s_or_b64 s[16:17], s[16:17], s[24:25]
                                        ; implicit-def: $vgpr4_vgpr5
; %bb.119:
	s_or_b64 exec, exec, s[20:21]
	s_andn2_b64 s[14:15], s[14:15], exec
	s_and_b64 s[18:19], s[18:19], exec
	s_andn2_b64 s[20:21], s[12:13], exec
	s_and_b64 s[16:17], s[16:17], exec
	s_or_b64 s[14:15], s[14:15], s[18:19]
	s_and_b64 s[18:19], s[22:23], exec
	s_or_b64 s[16:17], s[20:21], s[16:17]
.LBB10_120:
	s_or_b64 exec, exec, s[6:7]
	s_andn2_b64 s[6:7], s[8:9], exec
	s_and_b64 s[8:9], s[14:15], exec
	s_andn2_b64 s[12:13], s[12:13], exec
	s_and_b64 s[14:15], s[16:17], exec
	s_or_b64 s[8:9], s[6:7], s[8:9]
	s_and_b64 s[6:7], s[18:19], exec
	s_or_b64 s[12:13], s[12:13], s[14:15]
	s_or_b64 exec, exec, s[10:11]
	s_and_saveexec_b64 s[10:11], s[12:13]
	s_cbranch_execz .LBB10_36
.LBB10_121:
	s_trap 2
	; divergent unreachable
	s_andn2_b64 s[6:7], s[6:7], exec
                                        ; implicit-def: $vgpr4_vgpr5
	s_or_b64 exec, exec, s[10:11]
	s_and_saveexec_b64 s[10:11], s[6:7]
	s_xor_b64 s[6:7], exec, s[10:11]
	s_cbranch_execnz .LBB10_37
	s_branch .LBB10_38
.LBB10_122:
	s_or_saveexec_b64 s[22:23], s[22:23]
	v_pk_mov_b32 v[4:5], s[20:21], s[20:21] op_sel:[0,1]
	s_xor_b64 exec, exec, s[22:23]
	s_cbranch_execz .LBB10_30
.LBB10_123:
	v_cmp_ne_u16_e32 vcc, 0, v2
	s_andn2_b64 s[18:19], s[18:19], exec
	s_and_b64 s[20:21], vcc, exec
	v_pk_mov_b32 v[4:5], 0, 0
	s_or_b64 s[18:19], s[18:19], s[20:21]
	s_or_b64 exec, exec, s[22:23]
	s_and_saveexec_b64 s[20:21], s[18:19]
	s_cbranch_execnz .LBB10_31
	s_branch .LBB10_32
.LBB10_124:
	s_andn2_saveexec_b64 s[4:5], s[18:19]
	s_cbranch_execz .LBB10_126
.LBB10_125:
	s_mov_b32 s16, 0x6dc9c883
	s_mov_b32 s17, 0x3fe45f30
	v_mul_f64 v[4:5], |v[2:3]|, s[16:17]
	s_mov_b32 s16, 0x54442d18
	v_rndne_f64_e32 v[4:5], v[4:5]
	s_mov_b32 s17, 0xbff921fb
	v_fma_f64 v[6:7], v[4:5], s[16:17], |v[2:3]|
	s_mov_b32 s17, 0xbc91a626
	s_mov_b32 s16, 0x33145c00
	v_mul_f64 v[10:11], v[4:5], s[16:17]
	v_add_f64 v[22:23], v[6:7], v[10:11]
	v_fma_f64 v[12:13], s[16:17], v[4:5], v[6:7]
	s_mov_b32 s17, 0x3c91a626
	v_add_f64 v[6:7], v[6:7], -v[22:23]
	v_fma_f64 v[20:21], s[16:17], v[4:5], v[10:11]
	v_add_f64 v[6:7], v[6:7], v[10:11]
	v_add_f64 v[10:11], v[22:23], -v[12:13]
	v_add_f64 v[6:7], v[10:11], v[6:7]
	s_mov_b32 s16, 0x252049c0
	v_add_f64 v[6:7], v[6:7], -v[20:21]
	s_mov_b32 s17, 0xb97b839a
	v_fmac_f64_e32 v[6:7], s[16:17], v[4:5]
	v_add_f64 v[10:11], v[12:13], v[6:7]
	v_add_f64 v[12:13], v[10:11], -v[12:13]
	v_add_f64 v[12:13], v[6:7], -v[12:13]
	v_cvt_i32_f64_e32 v27, v[4:5]
.LBB10_126:
	s_or_b64 exec, exec, s[4:5]
                                        ; implicit-def: $vgpr26
                                        ; implicit-def: $vgpr4_vgpr5
                                        ; implicit-def: $vgpr6_vgpr7
	s_and_saveexec_b64 s[4:5], s[14:15]
	s_xor_b64 s[14:15], exec, s[4:5]
	s_cbranch_execz .LBB10_128
; %bb.127:
	s_mov_b32 s4, 0
	s_mov_b32 s5, 0x7b000000
	s_movk_i32 s16, 0xff80
	v_and_b32_e32 v6, 0x7fffffff, v3
	v_ldexp_f64 v[4:5], |v[2:3]|, s16
	v_cmp_ge_f64_e64 vcc, |v[2:3]|, s[4:5]
	v_cndmask_b32_e32 v5, v6, v5, vcc
	v_cndmask_b32_e32 v4, v2, v4, vcc
	v_mul_f64 v[20:21], v[18:19], v[4:5]
	v_mul_f64 v[6:7], v[16:17], v[4:5]
	v_fma_f64 v[18:19], v[18:19], v[4:5], -v[20:21]
	v_add_f64 v[22:23], v[6:7], v[18:19]
	v_add_f64 v[24:25], v[20:21], v[22:23]
	s_mov_b32 s4, 0
	v_ldexp_f64 v[28:29], v[24:25], -2
	s_mov_b32 s5, 0x7ff00000
	v_fract_f64_e32 v[30:31], v[28:29]
	v_cmp_neq_f64_e64 vcc, |v[28:29]|, s[4:5]
	v_cndmask_b32_e32 v29, 0, v31, vcc
	v_cndmask_b32_e32 v28, 0, v30, vcc
	v_add_f64 v[30:31], v[22:23], -v[6:7]
	v_add_f64 v[18:19], v[18:19], -v[30:31]
	;; [unrolled: 1-line block ×4, first 2 shown]
	v_fma_f64 v[6:7], v[16:17], v[4:5], -v[6:7]
	v_mul_f64 v[16:17], v[14:15], v[4:5]
	v_add_f64 v[18:19], v[18:19], v[30:31]
	v_add_f64 v[30:31], v[16:17], v[6:7]
	;; [unrolled: 1-line block ×3, first 2 shown]
	v_add_f64 v[20:21], v[24:25], -v[20:21]
	v_add_f64 v[24:25], v[34:35], -v[30:31]
	;; [unrolled: 1-line block ×5, first 2 shown]
	v_add_f64 v[18:19], v[18:19], v[24:25]
	v_add_f64 v[24:25], v[30:31], -v[16:17]
	v_add_f64 v[6:7], v[6:7], -v[24:25]
	;; [unrolled: 1-line block ×4, first 2 shown]
	v_add_f64 v[6:7], v[6:7], v[24:25]
	v_add_f64 v[20:21], v[22:23], -v[20:21]
	v_add_f64 v[6:7], v[6:7], v[18:19]
	v_fma_f64 v[4:5], v[14:15], v[4:5], -v[16:17]
	v_add_f64 v[22:23], v[20:21], v[34:35]
	v_add_f64 v[4:5], v[4:5], v[6:7]
	v_ldexp_f64 v[6:7], v[28:29], 2
	v_add_f64 v[14:15], v[22:23], v[6:7]
	v_mov_b32_e32 v16, 0x40100000
	v_cmp_gt_f64_e32 vcc, 0, v[14:15]
	v_mov_b32_e32 v32, 0
	v_cndmask_b32_e32 v33, 0, v16, vcc
	v_add_f64 v[6:7], v[6:7], v[32:33]
	v_add_f64 v[14:15], v[22:23], v[6:7]
	v_cvt_i32_f64_e32 v16, v[14:15]
	v_cvt_f64_i32_e32 v[14:15], v16
	v_add_f64 v[6:7], v[6:7], -v[14:15]
	v_add_f64 v[20:21], v[22:23], -v[20:21]
	v_add_f64 v[14:15], v[22:23], v[6:7]
	v_add_f64 v[20:21], v[34:35], -v[20:21]
	v_add_f64 v[6:7], v[14:15], -v[6:7]
	v_add_f64 v[4:5], v[20:21], v[4:5]
	v_add_f64 v[6:7], v[22:23], -v[6:7]
	v_add_f64 v[4:5], v[4:5], v[6:7]
	v_cmp_le_f64_e32 vcc, 0.5, v[14:15]
	v_mov_b32_e32 v6, 0x3ff00000
	v_cndmask_b32_e32 v33, 0, v6, vcc
	v_addc_co_u32_e64 v26, s[4:5], 0, v16, vcc
	v_add_f64 v[6:7], v[14:15], -v[32:33]
	v_add_f64 v[14:15], v[6:7], v[4:5]
	s_mov_b32 s4, 0x54442d18
	v_add_f64 v[6:7], v[14:15], -v[6:7]
	s_mov_b32 s5, 0x3ff921fb
	v_add_f64 v[4:5], v[4:5], -v[6:7]
	v_mul_f64 v[6:7], v[14:15], s[4:5]
	s_mov_b32 s16, 0x33145c07
	v_fma_f64 v[16:17], v[14:15], s[4:5], -v[6:7]
	s_mov_b32 s17, 0x3c91a626
	v_fmac_f64_e32 v[16:17], s[16:17], v[14:15]
	v_fmac_f64_e32 v[16:17], s[4:5], v[4:5]
	v_add_f64 v[4:5], v[6:7], v[16:17]
	v_add_f64 v[6:7], v[4:5], -v[6:7]
	v_add_f64 v[6:7], v[16:17], -v[6:7]
	s_andn2_saveexec_b64 s[4:5], s[14:15]
	s_cbranch_execnz .LBB10_129
	s_branch .LBB10_130
.LBB10_128:
	s_andn2_saveexec_b64 s[4:5], s[14:15]
	s_cbranch_execz .LBB10_130
.LBB10_129:
	s_mov_b32 s14, 0x6dc9c883
	s_mov_b32 s15, 0x3fe45f30
	v_mul_f64 v[4:5], |v[2:3]|, s[14:15]
	s_mov_b32 s14, 0x54442d18
	v_rndne_f64_e32 v[14:15], v[4:5]
	s_mov_b32 s15, 0xbff921fb
	v_fma_f64 v[4:5], v[14:15], s[14:15], |v[2:3]|
	s_mov_b32 s15, 0xbc91a626
	s_mov_b32 s14, 0x33145c00
	v_mul_f64 v[16:17], v[14:15], s[14:15]
	v_add_f64 v[20:21], v[4:5], v[16:17]
	v_fma_f64 v[6:7], s[14:15], v[14:15], v[4:5]
	s_mov_b32 s15, 0x3c91a626
	v_add_f64 v[4:5], v[4:5], -v[20:21]
	v_fma_f64 v[18:19], s[14:15], v[14:15], v[16:17]
	v_add_f64 v[4:5], v[4:5], v[16:17]
	v_add_f64 v[16:17], v[20:21], -v[6:7]
	v_add_f64 v[4:5], v[16:17], v[4:5]
	s_mov_b32 s14, 0x252049c0
	v_add_f64 v[16:17], v[4:5], -v[18:19]
	s_mov_b32 s15, 0xb97b839a
	v_fmac_f64_e32 v[16:17], s[14:15], v[14:15]
	v_add_f64 v[4:5], v[6:7], v[16:17]
	v_add_f64 v[6:7], v[4:5], -v[6:7]
	v_add_f64 v[6:7], v[16:17], -v[6:7]
	v_cvt_i32_f64_e32 v26, v[14:15]
.LBB10_130:
	s_or_b64 exec, exec, s[4:5]
	v_div_scale_f64 v[14:15], s[4:5], v[8:9], v[8:9], 1.0
	v_rcp_f64_e32 v[16:17], v[14:15]
	v_div_scale_f64 v[18:19], vcc, 1.0, v[8:9], 1.0
	v_mov_b32_e32 v22, 0xaf76e73b
	v_fma_f64 v[20:21], -v[14:15], v[16:17], 1.0
	v_fmac_f64_e32 v[16:17], v[16:17], v[20:21]
	v_fma_f64 v[20:21], -v[14:15], v[16:17], 1.0
	v_fmac_f64_e32 v[16:17], v[16:17], v[20:21]
	v_mul_f64 v[20:21], v[18:19], v[16:17]
	v_fma_f64 v[14:15], -v[14:15], v[20:21], v[18:19]
	v_div_fmas_f64 v[14:15], v[14:15], v[16:17], v[20:21]
	v_div_fixup_f64 v[8:9], v[14:15], v[8:9], 1.0
	v_mul_f64 v[14:15], v[8:9], v[8:9]
	v_mov_b32_e32 v16, 0xd50ae6fb
	v_mov_b32_e32 v17, 0xbfc0db6c
	v_fmac_f64_e32 v[16:17], 0, v[14:15]
	v_mov_b32_e32 v18, 0x98566852
	v_mov_b32_e32 v19, 0xbfe40bee
	v_fmac_f64_e32 v[18:19], v[14:15], v[16:17]
	;; [unrolled: 3-line block ×7, first 2 shown]
	v_mov_b32_e32 v16, 0x1d42366d
	v_mov_b32_e32 v17, 0xbec74a78
	;; [unrolled: 1-line block ×4, first 2 shown]
	v_fmac_f64_e32 v[16:17], v[14:15], v[20:21]
	v_fmac_f64_e32 v[18:19], 0, v[14:15]
	v_mov_b32_e32 v20, 0x44787b1a
	v_mov_b32_e32 v21, 0x4040575c
	v_fmac_f64_e32 v[20:21], v[14:15], v[18:19]
	v_mov_b32_e32 v18, 0xa3b73410
	v_mov_b32_e32 v19, 0x403abc98
	;; [unrolled: 3-line block ×6, first 2 shown]
	v_fmac_f64_e32 v[18:19], v[14:15], v[20:21]
	v_mov_b32_e32 v23, 0x3f13c8d7
	v_fmac_f64_e32 v[22:23], v[14:15], v[18:19]
	v_mov_b32_e32 v20, 0xb99518a7
	v_mov_b32_e32 v21, 0x3e9e52b9
	v_fmac_f64_e32 v[20:21], v[14:15], v[22:23]
	v_mov_b32_e32 v22, 0xf68ea2d2
	v_mov_b32_e32 v23, 0xbe52041c
	v_mul_f64 v[24:25], v[10:11], v[10:11]
	v_fmac_f64_e32 v[22:23], v[14:15], v[16:17]
	v_mul_f64 v[16:17], v[24:25], 0.5
	v_add_f64 v[18:19], -v[16:17], 1.0
	s_mov_b32 s4, 0x9037ab78
	v_add_f64 v[28:29], -v[18:19], 1.0
	s_mov_b32 s5, 0x3e21eeb6
	s_mov_b32 s14, 0x46cc5e42
	v_add_f64 v[28:29], v[28:29], -v[16:17]
	s_mov_b32 s15, 0xbda907db
	v_pk_mov_b32 v[16:17], s[4:5], s[4:5] op_sel:[0,1]
	s_mov_b32 s16, 0xa17f65f6
	v_fma_f64 v[32:33], s[14:15], v[24:25], v[16:17]
	s_mov_b32 s17, 0xbe927e4f
	s_mov_b32 s18, 0x19f4ec90
	v_fma_f64 v[32:33], v[24:25], v[32:33], s[16:17]
	s_mov_b32 s19, 0x3efa01a0
	;; [unrolled: 3-line block ×4, first 2 shown]
	v_mul_f64 v[30:31], v[24:25], v[24:25]
	v_fma_f64 v[32:33], v[24:25], v[32:33], s[22:23]
	v_fma_f64 v[28:29], v[10:11], -v[12:13], v[28:29]
	s_mov_b32 s4, 0xb42fdfa7
	v_fmac_f64_e32 v[28:29], v[30:31], v[32:33]
	s_mov_b32 s5, 0xbe5ae600
	s_mov_b32 s24, 0xf9a43bb8
	v_add_f64 v[28:29], v[18:19], v[28:29]
	s_mov_b32 s25, 0x3de5e0b2
	v_pk_mov_b32 v[18:19], s[4:5], s[4:5] op_sel:[0,1]
	s_mov_b32 s26, 0x796cde01
	v_fma_f64 v[30:31], s[24:25], v[24:25], v[18:19]
	s_mov_b32 s27, 0x3ec71de3
	s_mov_b32 s28, 0x19e83e5c
	v_fma_f64 v[30:31], v[24:25], v[30:31], s[26:27]
	s_mov_b32 s29, 0xbf2a01a0
	;; [unrolled: 3-line block ×3, first 2 shown]
	v_fma_f64 v[30:31], v[24:25], v[30:31], s[30:31]
	v_mul_f64 v[32:33], v[10:11], -v[24:25]
	v_mul_f64 v[34:35], v[12:13], 0.5
	v_fmac_f64_e32 v[34:35], v[32:33], v[30:31]
	v_fma_f64 v[12:13], v[24:25], v[34:35], -v[12:13]
	s_mov_b32 s35, 0xbfc55555
	s_mov_b32 s34, s22
	v_fmac_f64_e32 v[12:13], s[34:35], v[32:33]
	v_add_f64 v[10:11], v[10:11], -v[12:13]
	v_and_b32_e32 v12, 1, v27
	v_cmp_eq_u32_e32 vcc, 0, v12
	v_cndmask_b32_e32 v28, v28, v10, vcc
	v_cndmask_b32_e32 v10, v29, v11, vcc
	v_lshlrev_b32_e32 v11, 30, v27
	v_xor_b32_e32 v11, v11, v3
	v_and_b32_e32 v11, 0x80000000, v11
	v_xor_b32_e32 v27, v10, v11
	v_mul_f64 v[10:11], v[14:15], v[22:23]
	v_div_scale_f64 v[12:13], s[4:5], v[20:21], v[20:21], v[10:11]
	v_rcp_f64_e32 v[24:25], v[12:13]
	s_movk_i32 vcc_lo, 0x1f8
	v_cmp_class_f64_e64 s[4:5], v[2:3], vcc_lo
	v_cndmask_b32_e64 v2, 0, v28, s[4:5]
	v_fma_f64 v[28:29], -v[12:13], v[24:25], 1.0
	v_fmac_f64_e32 v[24:25], v[24:25], v[28:29]
	v_fma_f64 v[28:29], -v[12:13], v[24:25], 1.0
	v_fmac_f64_e32 v[24:25], v[24:25], v[28:29]
	v_div_scale_f64 v[28:29], vcc, v[10:11], v[20:21], v[10:11]
	v_mul_f64 v[30:31], v[28:29], v[24:25]
	v_fma_f64 v[12:13], -v[12:13], v[30:31], v[28:29]
	v_mov_b32_e32 v28, 0xdb0724e8
	s_nop 0
	v_div_fmas_f64 v[12:13], v[12:13], v[24:25], v[30:31]
	v_div_fixup_f64 v[10:11], v[12:13], v[20:21], v[10:11]
	v_mov_b32_e32 v12, 0xddcfbbde
	v_mov_b32_e32 v13, 0x3f943525
	v_fmac_f64_e32 v[12:13], 0, v[14:15]
	v_mov_b32_e32 v20, 0x6437b7
	v_mov_b32_e32 v21, 0x3fd907d5
	v_fmac_f64_e32 v[20:21], v[14:15], v[12:13]
	;; [unrolled: 3-line block ×16, first 2 shown]
	v_mov_b32_e32 v24, 0xed64a9ee
	v_mov_b32_e32 v25, 0x3fb6221d
	s_mov_b32 vcc_lo, 0
	v_fmac_f64_e32 v[24:25], v[14:15], v[20:21]
	v_mov_b32_e32 v20, 0x6be393bb
	v_mov_b32_e32 v21, 0x3f70e704
	s_brev_b32 vcc_hi, 8
	v_fmac_f64_e32 v[20:21], v[14:15], v[24:25]
	v_mov_b32_e32 v24, 0xd603a5a0
	v_mov_b32_e32 v25, 0x3f1a8b61
	v_cmp_gt_f64_e32 vcc, vcc, v[0:1]
	v_fmac_f64_e32 v[24:25], v[14:15], v[20:21]
	v_cndmask_b32_e64 v20, 0, 1, vcc
	v_lshlrev_b32_e32 v20, 8, v20
	v_ldexp_f64 v[0:1], v[0:1], v20
	v_rsq_f64_e32 v[20:21], v[0:1]
	v_mov_b32_e32 v29, 0x3eb3a845
	v_fmac_f64_e32 v[28:29], v[14:15], v[24:25]
	v_mov_b32_e32 v23, 0x260
	v_mul_f64 v[24:25], v[0:1], v[20:21]
	v_mul_f64 v[20:21], v[20:21], 0.5
	v_fma_f64 v[30:31], -v[20:21], v[24:25], 0.5
	v_fmac_f64_e32 v[24:25], v[24:25], v[30:31]
	v_fma_f64 v[32:33], -v[24:25], v[24:25], v[0:1]
	v_fmac_f64_e32 v[20:21], v[20:21], v[30:31]
	v_fmac_f64_e32 v[24:25], v[32:33], v[20:21]
	v_fma_f64 v[30:31], -v[24:25], v[24:25], v[0:1]
	v_fmac_f64_e32 v[24:25], v[30:31], v[20:21]
	v_mov_b32_e32 v20, 0xffffff80
	v_cndmask_b32_e32 v20, 0, v20, vcc
	v_ldexp_f64 v[20:21], v[24:25], v20
	v_cmp_class_f64_e32 vcc, v[0:1], v23
	s_mov_b32 s36, 0x50429b6d
	v_cndmask_b32_e32 v21, v21, v1, vcc
	v_cndmask_b32_e32 v20, v20, v0, vcc
	s_mov_b32 s37, 0x3fe20dd7
	v_div_scale_f64 v[24:25], vcc, v[20:21], v[20:21], s[36:37]
	v_rcp_f64_e32 v[30:31], v[24:25]
	v_mov_b32_e32 v0, 0x3dd589d4
	v_mov_b32_e32 v1, 0x3e351fc7
	v_fmac_f64_e32 v[0:1], v[14:15], v[28:29]
	v_fma_f64 v[14:15], -v[24:25], v[30:31], 1.0
	v_fmac_f64_e32 v[30:31], v[30:31], v[14:15]
	v_fma_f64 v[14:15], -v[24:25], v[30:31], 1.0
	v_fmac_f64_e32 v[30:31], v[30:31], v[14:15]
	v_div_scale_f64 v[14:15], vcc, s[36:37], v[20:21], s[36:37]
	v_mul_f64 v[28:29], v[14:15], v[30:31]
	v_fma_f64 v[14:15], -v[24:25], v[28:29], v[14:15]
	v_mov_b32_e32 v22, 0x7ff80000
	s_nop 0
	v_div_fmas_f64 v[14:15], v[14:15], v[30:31], v[28:29]
	v_div_fixup_f64 v[14:15], v[14:15], v[20:21], s[36:37]
	v_mul_f64 v[20:21], v[4:5], v[4:5]
	v_mul_f64 v[24:25], v[20:21], 0.5
	v_fmac_f64_e32 v[16:17], s[14:15], v[20:21]
	v_add_f64 v[28:29], -v[24:25], 1.0
	v_fma_f64 v[16:17], v[20:21], v[16:17], s[16:17]
	v_add_f64 v[30:31], -v[28:29], 1.0
	v_fma_f64 v[16:17], v[20:21], v[16:17], s[18:19]
	v_add_f64 v[24:25], v[30:31], -v[24:25]
	v_fma_f64 v[16:17], v[20:21], v[16:17], s[20:21]
	v_fmac_f64_e32 v[18:19], s[24:25], v[20:21]
	v_mul_f64 v[30:31], v[20:21], v[20:21]
	v_fma_f64 v[16:17], v[20:21], v[16:17], s[22:23]
	v_fma_f64 v[24:25], v[4:5], -v[6:7], v[24:25]
	v_fma_f64 v[18:19], v[20:21], v[18:19], s[26:27]
	v_fmac_f64_e32 v[24:25], v[30:31], v[16:17]
	v_fma_f64 v[18:19], v[20:21], v[18:19], s[28:29]
	v_add_f64 v[16:17], v[28:29], v[24:25]
	v_fma_f64 v[18:19], v[20:21], v[18:19], s[30:31]
	v_mul_f64 v[24:25], v[4:5], -v[20:21]
	v_mul_f64 v[28:29], v[6:7], 0.5
	v_fmac_f64_e32 v[28:29], v[24:25], v[18:19]
	v_fma_f64 v[6:7], v[20:21], v[28:29], -v[6:7]
	v_fmac_f64_e32 v[6:7], s[34:35], v[24:25]
	v_add_f64 v[4:5], v[4:5], -v[6:7]
	v_and_b32_e32 v6, 1, v26
	v_cmp_eq_u32_e32 vcc, 0, v6
	v_xor_b32_e32 v5, 0x80000000, v5
	v_cndmask_b32_e32 v16, v4, v16, vcc
	v_lshlrev_b32_e32 v4, 30, v26
	v_cndmask_b32_e32 v17, v5, v17, vcc
	v_and_b32_e32 v18, 0x80000000, v4
	v_mul_f64 v[4:5], v[8:9], v[12:13]
	v_div_scale_f64 v[6:7], s[14:15], v[0:1], v[0:1], v[4:5]
	v_rcp_f64_e32 v[8:9], v[6:7]
	v_xor_b32_e32 v13, v17, v18
	v_cndmask_b32_e64 v12, 0, v16, s[4:5]
	v_cndmask_b32_e64 v13, v22, v13, s[4:5]
	v_fma_f64 v[16:17], -v[6:7], v[8:9], 1.0
	v_fmac_f64_e32 v[8:9], v[8:9], v[16:17]
	v_fma_f64 v[16:17], -v[6:7], v[8:9], 1.0
	v_fmac_f64_e32 v[8:9], v[8:9], v[16:17]
	v_div_scale_f64 v[16:17], vcc, v[4:5], v[0:1], v[4:5]
	v_mul_f64 v[18:19], v[16:17], v[8:9]
	v_fma_f64 v[6:7], -v[6:7], v[18:19], v[16:17]
	v_cndmask_b32_e64 v3, v22, v27, s[4:5]
	s_nop 0
	v_div_fmas_f64 v[6:7], v[6:7], v[8:9], v[18:19]
	v_div_fixup_f64 v[0:1], v[6:7], v[0:1], v[4:5]
	v_add_f64 v[10:11], v[10:11], 1.0
	v_mul_f64 v[0:1], v[0:1], v[12:13]
	v_fma_f64 v[0:1], v[10:11], v[2:3], -v[0:1]
	v_mul_f64 v[0:1], v[14:15], v[0:1]
.LBB10_131:
	s_or_b64 exec, exec, s[12:13]
.LBB10_132:
	s_or_b64 exec, exec, s[10:11]
.LBB10_133:
	s_or_b64 exec, exec, s[8:9]
.LBB10_134:
	s_or_b64 exec, exec, s[6:7]
	v_readlane_b32 s30, v36, 4
	v_readlane_b32 s31, v36, 5
	;; [unrolled: 1-line block ×6, first 2 shown]
	s_xor_saveexec_b64 s[4:5], -1
	buffer_load_dword v36, off, s[0:3], s32 ; 4-byte Folded Reload
	s_mov_b64 exec, s[4:5]
	s_waitcnt vmcnt(0) lgkmcnt(0)
	s_setpc_b64 s[30:31]
.LBB10_135:
	s_or_saveexec_b64 s[22:23], s[22:23]
	v_pk_mov_b32 v[4:5], s[20:21], s[20:21] op_sel:[0,1]
	s_xor_b64 exec, exec, s[22:23]
	s_cbranch_execz .LBB10_103
.LBB10_136:
	v_cmp_ne_u16_e32 vcc, 0, v2
	s_andn2_b64 s[18:19], s[18:19], exec
	s_and_b64 s[20:21], vcc, exec
	v_pk_mov_b32 v[4:5], 0, 0
	s_or_b64 s[18:19], s[18:19], s[20:21]
	s_or_b64 exec, exec, s[22:23]
	s_and_saveexec_b64 s[20:21], s[18:19]
	s_cbranch_execnz .LBB10_104
	s_branch .LBB10_105
.Lfunc_end10:
	.size	_ZN2at6native6invokeIZZZNS0_12_GLOBAL__N_119airy_ai_kernel_cudaERNS_18TensorIteratorBaseEENKUlvE_clEvENKUlvE_clEvEUldE_j15function_traitsIS7_EEENT1_11result_typeERKT_PrKPcPKT0_PKN3c1010ScalarTypeEi, .Lfunc_end10-_ZN2at6native6invokeIZZZNS0_12_GLOBAL__N_119airy_ai_kernel_cudaERNS_18TensorIteratorBaseEENKUlvE_clEvENKUlvE_clEvEUldE_j15function_traitsIS7_EEENT1_11result_typeERKT_PrKPcPKT0_PKN3c1010ScalarTypeEi
                                        ; -- End function
	.section	.AMDGPU.csdata,"",@progbits
; Function info:
; codeLenInByte = 8604
; NumSgprs: 42
; NumVgprs: 37
; NumAgprs: 0
; TotalNumVgprs: 37
; ScratchSize: 8
; MemoryBound: 1
	.section	.text._ZN2at6native32elementwise_kernel_manual_unrollILi128ELi4EZNS0_15gpu_kernel_implIZZZNS0_12_GLOBAL__N_119airy_ai_kernel_cudaERNS_18TensorIteratorBaseEENKUlvE_clEvENKUlvE_clEvEUldE_EEvS5_RKT_EUlibE0_EEviT1_,"axG",@progbits,_ZN2at6native32elementwise_kernel_manual_unrollILi128ELi4EZNS0_15gpu_kernel_implIZZZNS0_12_GLOBAL__N_119airy_ai_kernel_cudaERNS_18TensorIteratorBaseEENKUlvE_clEvENKUlvE_clEvEUldE_EEvS5_RKT_EUlibE0_EEviT1_,comdat
	.globl	_ZN2at6native32elementwise_kernel_manual_unrollILi128ELi4EZNS0_15gpu_kernel_implIZZZNS0_12_GLOBAL__N_119airy_ai_kernel_cudaERNS_18TensorIteratorBaseEENKUlvE_clEvENKUlvE_clEvEUldE_EEvS5_RKT_EUlibE0_EEviT1_ ; -- Begin function _ZN2at6native32elementwise_kernel_manual_unrollILi128ELi4EZNS0_15gpu_kernel_implIZZZNS0_12_GLOBAL__N_119airy_ai_kernel_cudaERNS_18TensorIteratorBaseEENKUlvE_clEvENKUlvE_clEvEUldE_EEvS5_RKT_EUlibE0_EEviT1_
	.p2align	8
	.type	_ZN2at6native32elementwise_kernel_manual_unrollILi128ELi4EZNS0_15gpu_kernel_implIZZZNS0_12_GLOBAL__N_119airy_ai_kernel_cudaERNS_18TensorIteratorBaseEENKUlvE_clEvENKUlvE_clEvEUldE_EEvS5_RKT_EUlibE0_EEviT1_,@function
_ZN2at6native32elementwise_kernel_manual_unrollILi128ELi4EZNS0_15gpu_kernel_implIZZZNS0_12_GLOBAL__N_119airy_ai_kernel_cudaERNS_18TensorIteratorBaseEENKUlvE_clEvENKUlvE_clEvEUldE_EEvS5_RKT_EUlibE0_EEviT1_: ; @_ZN2at6native32elementwise_kernel_manual_unrollILi128ELi4EZNS0_15gpu_kernel_implIZZZNS0_12_GLOBAL__N_119airy_ai_kernel_cudaERNS_18TensorIteratorBaseEENKUlvE_clEvENKUlvE_clEvEUldE_EEvS5_RKT_EUlibE0_EEviT1_
; %bb.0:
	s_load_dword s80, s[4:5], 0x0
	s_load_dword s33, s[4:5], 0x8
	s_add_u32 flat_scratch_lo, s6, s9
	s_addc_u32 flat_scratch_hi, s7, 0
	s_add_u32 s0, s0, s9
	s_mov_b64 s[38:39], s[4:5]
	s_addc_u32 s1, s1, 0
	s_or_b32 s52, s38, 8
	v_lshl_or_b32 v40, s8, 9, v0
	s_waitcnt lgkmcnt(0)
	s_add_i32 s82, s33, -1
	v_or_b32_e32 v6, 0x180, v40
	s_cmp_gt_u32 s82, 1
	s_mov_b32 s53, s5
	v_cmp_le_i32_e32 vcc, s80, v6
	s_cselect_b64 s[56:57], -1, 0
	s_mov_b64 s[54:55], 0
	s_mov_b64 s[44:45], 0
	s_mov_b32 s32, 0
	s_and_saveexec_b64 s[4:5], vcc
	s_xor_b64 s[58:59], exec, s[4:5]
	s_cbranch_execz .LBB11_570
; %bb.1:
	v_mov_b32_e32 v0, 0
	global_load_ushort v41, v0, s[52:53] offset:345
	s_load_dwordx4 s[48:51], s[52:53], 0x4
	s_load_dwordx2 s[60:61], s[52:53], 0x14
	s_load_dwordx4 s[44:47], s[52:53], 0xc4
	s_load_dwordx4 s[40:43], s[52:53], 0x148
	s_cmp_lg_u32 s33, 0
	s_cselect_b64 s[66:67], -1, 0
	s_add_u32 s64, s52, 0xc4
	s_addc_u32 s65, s53, 0
	s_min_u32 s83, s82, 15
	s_cmp_gt_u32 s33, 1
	v_cmp_gt_i32_e32 vcc, s80, v40
	s_mov_b64 s[4:5], -1
	s_mov_b64 s[74:75], 0
	s_cselect_b64 s[62:63], -1, 0
	s_mov_b64 s[68:69], 0
	s_waitcnt vmcnt(0)
	v_lshrrev_b16_e32 v37, 8, v41
	s_and_saveexec_b64 s[70:71], vcc
                                        ; implicit-def: $vgpr2_vgpr3
	s_cbranch_execz .LBB11_139
; %bb.2:
	s_andn2_b64 vcc, exec, s[56:57]
	s_cbranch_vccnz .LBB11_8
; %bb.3:
	s_mov_b32 s24, 0
	s_andn2_b64 vcc, exec, s[66:67]
	v_mov_b32_e32 v2, 0
	v_mov_b32_e32 v38, 0
	s_cbranch_vccnz .LBB11_14
; %bb.4:
	s_add_i32 s30, s83, 1
	s_cmp_eq_u32 s82, 2
	s_cbranch_scc1 .LBB11_9
; %bb.5:
	s_and_b32 s24, s30, 28
	s_mov_b32 s25, 0
	v_mov_b32_e32 v38, 0
	s_mov_b64 s[26:27], s[52:53]
	s_mov_b64 s[28:29], s[64:65]
	v_mov_b32_e32 v0, v40
	v_mov_b32_e32 v2, 0
.LBB11_6:                               ; =>This Inner Loop Header: Depth=1
	s_load_dwordx8 s[12:19], s[26:27], 0x4
	s_load_dwordx4 s[20:23], s[26:27], 0x24
	s_load_dwordx8 s[4:11], s[28:29], 0x0
	s_add_u32 s26, s26, 48
	s_addc_u32 s27, s27, 0
	s_waitcnt lgkmcnt(0)
	v_mul_hi_u32 v1, s13, v0
	v_add_u32_e32 v1, v0, v1
	v_lshrrev_b32_e32 v1, s14, v1
	v_mul_lo_u32 v3, v1, s12
	v_mul_hi_u32 v4, s16, v1
	v_sub_u32_e32 v0, v0, v3
	v_add_u32_e32 v3, v1, v4
	v_lshrrev_b32_e32 v3, s17, v3
	v_mul_lo_u32 v5, v3, s15
	v_mul_hi_u32 v6, s19, v3
	v_sub_u32_e32 v1, v1, v5
	v_add_u32_e32 v5, v3, v6
	v_mul_lo_u32 v4, v0, s5
	v_mul_lo_u32 v0, v0, s4
	;; [unrolled: 1-line block ×4, first 2 shown]
	v_lshrrev_b32_e32 v5, s20, v5
	v_add3_u32 v1, v0, v38, v1
	v_add3_u32 v2, v4, v2, v6
	v_mul_lo_u32 v0, v5, s18
	v_mul_hi_u32 v4, s22, v5
	v_sub_u32_e32 v0, v3, v0
	v_add_u32_e32 v3, v5, v4
	v_mul_lo_u32 v4, v0, s8
	v_mul_lo_u32 v6, v0, s9
	v_lshrrev_b32_e32 v0, s23, v3
	s_add_i32 s25, s25, 4
	v_mul_lo_u32 v3, v0, s21
	s_add_u32 s28, s28, 32
	v_sub_u32_e32 v3, v5, v3
	s_addc_u32 s29, s29, 0
	v_mul_lo_u32 v5, v3, s10
	v_mul_lo_u32 v3, v3, s11
	s_cmp_lg_u32 s24, s25
	v_add3_u32 v2, v6, v2, v3
	v_add3_u32 v38, v4, v1, v5
	s_cbranch_scc1 .LBB11_6
; %bb.7:
	v_mov_b32_e32 v39, v2
	s_branch .LBB11_10
.LBB11_8:
                                        ; implicit-def: $vgpr2
                                        ; implicit-def: $vgpr38
	s_andn2_b64 vcc, exec, s[4:5]
	s_cbranch_vccz .LBB11_15
	s_branch .LBB11_17
.LBB11_9:
	s_mov_b32 s25, s24
	v_pk_mov_b32 v[38:39], s[24:25], s[24:25] op_sel:[0,1]
                                        ; implicit-def: $vgpr2
	v_mov_b32_e32 v0, v40
.LBB11_10:
	s_and_b32 s8, s30, 3
	s_cmp_eq_u32 s8, 0
	s_cbranch_scc1 .LBB11_14
; %bb.11:
	s_lshl_b32 s4, s24, 3
	s_add_u32 s4, s4, s52
	s_addc_u32 s5, s53, 0
	s_add_u32 s4, s4, 0xc4
	s_addc_u32 s5, s5, 0
	s_mul_i32 s6, s24, 12
	s_add_u32 s6, s52, s6
	s_addc_u32 s7, s53, 0
.LBB11_12:                              ; =>This Inner Loop Header: Depth=1
	s_load_dwordx2 s[10:11], s[6:7], 0x4
	s_load_dword s9, s[6:7], 0xc
	s_load_dwordx2 s[12:13], s[4:5], 0x0
	s_add_u32 s6, s6, 12
	s_addc_u32 s7, s7, 0
	s_waitcnt lgkmcnt(0)
	v_mul_hi_u32 v1, s11, v0
	v_add_u32_e32 v1, v0, v1
	v_lshrrev_b32_e32 v1, s9, v1
	v_mul_lo_u32 v3, v1, s10
	v_mov_b32_e32 v2, v39
	s_add_u32 s4, s4, 8
	v_sub_u32_e32 v4, v0, v3
	s_addc_u32 s5, s5, 0
	s_add_i32 s8, s8, -1
	v_mad_u64_u32 v[2:3], s[10:11], v4, s13, v[2:3]
	v_mad_u64_u32 v[38:39], s[10:11], v4, s12, v[38:39]
	s_cmp_lg_u32 s8, 0
	v_mov_b32_e32 v0, v1
	v_mov_b32_e32 v39, v2
	s_cbranch_scc1 .LBB11_12
; %bb.13:
	v_mov_b32_e32 v2, v39
.LBB11_14:
	s_cbranch_execnz .LBB11_17
.LBB11_15:
	s_waitcnt lgkmcnt(0)
	v_mul_hi_u32 v0, s49, v40
	v_add_u32_e32 v0, v40, v0
	v_lshrrev_b32_e32 v0, s50, v0
	v_mul_lo_u32 v1, v0, s48
	v_sub_u32_e32 v1, v40, v1
	v_mul_lo_u32 v2, v1, s45
	s_andn2_b64 vcc, exec, s[62:63]
	v_mul_lo_u32 v38, v1, s44
	s_cbranch_vccnz .LBB11_17
; %bb.16:
	v_mul_hi_u32 v1, s60, v0
	v_add_u32_e32 v1, v0, v1
	v_lshrrev_b32_e32 v1, s61, v1
	v_mul_lo_u32 v1, v1, s51
	v_sub_u32_e32 v0, v0, v1
	v_mad_u64_u32 v[38:39], s[4:5], v0, s46, v[38:39]
	v_mad_u64_u32 v[2:3], s[4:5], v0, s47, v[2:3]
.LBB11_17:
	s_waitcnt lgkmcnt(0)
	v_mov_b32_e32 v0, s42
	v_mov_b32_e32 v1, s43
	;; [unrolled: 1-line block ×3, first 2 shown]
	s_getpc_b64 s[4:5]
	s_add_u32 s4, s4, _ZN2at6native6invokeIZZZNS0_12_GLOBAL__N_119airy_ai_kernel_cudaERNS_18TensorIteratorBaseEENKUlvE_clEvENKUlvE_clEvEUldE_j15function_traitsIS7_EEENT1_11result_typeERKT_PrKPcPKT0_PKN3c1010ScalarTypeEi@rel32@lo+4
	s_addc_u32 s5, s5, _ZN2at6native6invokeIZZZNS0_12_GLOBAL__N_119airy_ai_kernel_cudaERNS_18TensorIteratorBaseEENKUlvE_clEvENKUlvE_clEvEUldE_j15function_traitsIS7_EEENT1_11result_typeERKT_PrKPcPKT0_PKN3c1010ScalarTypeEi@rel32@hi+12
	s_swappc_b64 s[30:31], s[4:5]
	v_mov_b32_e32 v2, s41
	v_add_co_u32_e32 v4, vcc, s40, v38
	v_addc_co_u32_e32 v5, vcc, 0, v2, vcc
	v_mov_b32_e32 v2, 11
	v_cmp_lt_i16_sdwa s[4:5], v41, v2 src0_sel:BYTE_0 src1_sel:DWORD
	s_and_b64 vcc, exec, s[4:5]
	s_cbranch_vccnz .LBB11_24
; %bb.18:
	v_mov_b32_e32 v2, 25
	v_cmp_gt_i16_sdwa s[4:5], v41, v2 src0_sel:BYTE_0 src1_sel:DWORD
	s_and_b64 vcc, exec, s[4:5]
	s_cbranch_vccz .LBB11_27
; %bb.19:
	v_mov_b32_e32 v2, 28
	v_cmp_gt_i16_sdwa s[4:5], v41, v2 src0_sel:BYTE_0 src1_sel:DWORD
	s_and_b64 vcc, exec, s[4:5]
	s_cbranch_vccz .LBB11_28
	;; [unrolled: 5-line block ×4, first 2 shown]
; %bb.22:
	v_mov_b32_e32 v2, 46
	v_cmp_eq_u16_sdwa s[6:7], v41, v2 src0_sel:BYTE_0 src1_sel:DWORD
	s_mov_b64 s[8:9], 0
	s_mov_b64 s[4:5], -1
	s_and_b64 vcc, exec, s[6:7]
	s_mov_b64 s[6:7], 0
	s_cbranch_vccz .LBB11_31
; %bb.23:
	v_cvt_f32_f64_e32 v2, v[0:1]
	v_bfe_u32 v3, v2, 16, 1
	s_movk_i32 s4, 0x7fff
	v_add3_u32 v3, v2, v3, s4
	v_lshrrev_b32_e32 v3, 16, v3
	v_mov_b32_e32 v6, 0x7fc0
	v_cmp_o_f32_e32 vcc, v2, v2
	v_cndmask_b32_e32 v2, v6, v3, vcc
	global_store_dword v[4:5], v2, off
	s_mov_b64 s[6:7], -1
	s_mov_b64 s[4:5], 0
	s_branch .LBB11_31
.LBB11_24:
	s_mov_b64 s[4:5], 0
	s_mov_b64 s[6:7], 0
	s_cbranch_execnz .LBB11_99
.LBB11_25:
	s_andn2_b64 vcc, exec, s[6:7]
	s_cbranch_vccnz .LBB11_137
.LBB11_26:
	v_add_u32_e32 v40, 0x80, v40
	s_mov_b64 s[6:7], -1
	s_branch .LBB11_138
.LBB11_27:
	s_mov_b64 s[4:5], 0
	s_mov_b64 s[6:7], 0
	s_cbranch_execnz .LBB11_58
	s_branch .LBB11_98
.LBB11_28:
	s_mov_b64 s[8:9], -1
	s_mov_b64 s[4:5], 0
	s_mov_b64 s[6:7], 0
	s_branch .LBB11_41
.LBB11_29:
	s_mov_b64 s[8:9], -1
	s_mov_b64 s[4:5], 0
	s_mov_b64 s[6:7], 0
	s_branch .LBB11_37
.LBB11_30:
	s_mov_b64 s[8:9], -1
	s_mov_b64 s[4:5], 0
	s_mov_b64 s[6:7], 0
.LBB11_31:
	s_and_b64 vcc, exec, s[8:9]
	s_cbranch_vccz .LBB11_36
; %bb.32:
	v_mov_b32_e32 v2, 44
	v_cmp_eq_u16_sdwa s[8:9], v41, v2 src0_sel:BYTE_0 src1_sel:DWORD
	s_mov_b64 s[4:5], -1
	s_and_b64 vcc, exec, s[8:9]
	s_cbranch_vccz .LBB11_36
; %bb.33:
	v_cvt_f32_f64_e32 v2, v[0:1]
	v_bfe_u32 v3, v2, 23, 8
	s_movk_i32 s4, 0xff
	v_cmp_ne_u32_e32 vcc, s4, v3
	v_mov_b32_e32 v6, 0xff
	s_and_saveexec_b64 s[6:7], vcc
; %bb.34:
	s_mov_b32 s4, 0x3fffff
	v_lshrrev_b32_e32 v6, 23, v2
	v_and_b32_e32 v7, 0x400000, v2
	v_and_or_b32 v2, v2, s4, v3
	v_cmp_ne_u32_e32 vcc, 0, v7
	v_cmp_ne_u32_e64 s[4:5], 0, v2
	s_and_b64 s[4:5], vcc, s[4:5]
	v_cndmask_b32_e64 v2, 0, 1, s[4:5]
	v_add_u32_e32 v6, v6, v2
; %bb.35:
	s_or_b64 exec, exec, s[6:7]
	s_mov_b64 s[6:7], -1
	s_mov_b64 s[4:5], 0
	global_store_byte v[4:5], v6, off
.LBB11_36:
	s_mov_b64 s[8:9], 0
.LBB11_37:
	s_and_b64 vcc, exec, s[8:9]
	s_cbranch_vccz .LBB11_40
; %bb.38:
	v_mov_b32_e32 v2, 29
	v_cmp_eq_u16_sdwa s[8:9], v41, v2 src0_sel:BYTE_0 src1_sel:DWORD
	s_mov_b64 s[4:5], -1
	s_and_b64 vcc, exec, s[8:9]
	s_cbranch_vccz .LBB11_40
; %bb.39:
	v_trunc_f64_e32 v[2:3], v[0:1]
	s_movk_i32 s4, 0xffe0
	v_ldexp_f64 v[6:7], v[2:3], s4
	v_floor_f64_e32 v[6:7], v[6:7]
	v_fmac_f64_e32 v[2:3], 0xc1f00000, v[6:7]
	v_cvt_u32_f64_e32 v9, v[6:7]
	v_cvt_u32_f64_e32 v8, v[2:3]
	global_store_dwordx2 v[4:5], v[8:9], off
	s_mov_b64 s[6:7], -1
	s_mov_b64 s[4:5], 0
.LBB11_40:
	s_mov_b64 s[8:9], 0
.LBB11_41:
	s_and_b64 vcc, exec, s[8:9]
	s_cbranch_vccz .LBB11_57
; %bb.42:
	v_mov_b32_e32 v2, 27
	v_cmp_lt_i16_sdwa s[8:9], v41, v2 src0_sel:BYTE_0 src1_sel:DWORD
	s_mov_b64 s[6:7], -1
	s_and_b64 vcc, exec, s[8:9]
	s_cbranch_vccnz .LBB11_48
; %bb.43:
	v_cmp_gt_i16_sdwa s[8:9], v41, v2 src0_sel:BYTE_0 src1_sel:DWORD
	s_and_b64 vcc, exec, s[8:9]
	s_cbranch_vccz .LBB11_45
; %bb.44:
	v_cvt_u32_f64_e32 v2, v[0:1]
	s_mov_b64 s[6:7], 0
	global_store_dword v[4:5], v2, off
.LBB11_45:
	s_andn2_b64 vcc, exec, s[6:7]
	s_cbranch_vccnz .LBB11_47
; %bb.46:
	v_cvt_u32_f64_e32 v2, v[0:1]
	global_store_short v[4:5], v2, off
.LBB11_47:
	s_mov_b64 s[6:7], 0
.LBB11_48:
	s_andn2_b64 vcc, exec, s[6:7]
	s_cbranch_vccnz .LBB11_56
; %bb.49:
	v_cvt_f32_f64_e32 v2, v[0:1]
	v_and_b32_e32 v3, 0x7fffffff, v2
	s_mov_b32 s6, 0x43800000
	v_cmp_gt_u32_e32 vcc, s6, v3
	v_mov_b32_e32 v6, 0x80
	s_and_saveexec_b64 s[6:7], vcc
	s_cbranch_execz .LBB11_55
; %bb.50:
	s_mov_b32 s8, 0x3bffffff
	v_cmp_lt_u32_e32 vcc, s8, v3
	s_mov_b64 s[8:9], 0
                                        ; implicit-def: $vgpr3
	s_and_saveexec_b64 s[10:11], vcc
	s_xor_b64 s[10:11], exec, s[10:11]
	s_cbranch_execz .LBB11_171
; %bb.51:
	v_bfe_u32 v3, v2, 20, 1
	s_mov_b32 s12, 0x487ffff
	v_add3_u32 v3, v2, v3, s12
	s_mov_b64 s[8:9], exec
	v_lshrrev_b32_e32 v3, 20, v3
	s_or_saveexec_b64 s[10:11], s[10:11]
                                        ; implicit-def: $sgpr12
	s_xor_b64 exec, exec, s[10:11]
	s_cbranch_execnz .LBB11_172
.LBB11_52:
	s_or_b64 exec, exec, s[10:11]
	v_mov_b32_e32 v6, s12
	s_and_saveexec_b64 s[10:11], s[8:9]
.LBB11_53:
	v_lshrrev_b32_e32 v2, 24, v2
	s_movk_i32 s8, 0x80
	v_and_or_b32 v6, v2, s8, v3
.LBB11_54:
	s_or_b64 exec, exec, s[10:11]
.LBB11_55:
	s_or_b64 exec, exec, s[6:7]
	global_store_byte v[4:5], v6, off
.LBB11_56:
	s_mov_b64 s[6:7], -1
.LBB11_57:
	s_branch .LBB11_98
.LBB11_58:
	v_mov_b32_e32 v2, 22
	v_cmp_gt_i16_sdwa s[10:11], v41, v2 src0_sel:BYTE_0 src1_sel:DWORD
	s_mov_b64 s[8:9], -1
	s_and_b64 vcc, exec, s[10:11]
	s_cbranch_vccz .LBB11_90
; %bb.59:
	v_mov_b32_e32 v2, 24
	v_cmp_lt_i16_sdwa s[8:9], v41, v2 src0_sel:BYTE_0 src1_sel:DWORD
	s_mov_b64 s[6:7], -1
	s_and_b64 vcc, exec, s[8:9]
	s_cbranch_vccnz .LBB11_79
; %bb.60:
	v_cmp_gt_i16_sdwa s[8:9], v41, v2 src0_sel:BYTE_0 src1_sel:DWORD
	s_and_b64 vcc, exec, s[8:9]
	s_cbranch_vccz .LBB11_68
; %bb.61:
	v_cvt_f32_f64_e32 v2, v[0:1]
	v_and_b32_e32 v3, 0x7fffffff, v2
	s_mov_b32 s6, 0x47800000
	v_cmp_gt_u32_e32 vcc, s6, v3
	v_mov_b32_e32 v6, 0x80
	s_and_saveexec_b64 s[6:7], vcc
	s_cbranch_execz .LBB11_67
; %bb.62:
	s_mov_b32 s8, 0x37ffffff
	v_cmp_lt_u32_e32 vcc, s8, v3
	s_mov_b64 s[8:9], 0
                                        ; implicit-def: $vgpr3
	s_and_saveexec_b64 s[10:11], vcc
	s_xor_b64 s[10:11], exec, s[10:11]
	s_cbranch_execz .LBB11_174
; %bb.63:
	v_bfe_u32 v3, v2, 21, 1
	s_mov_b32 s12, 0x88fffff
	v_add3_u32 v3, v2, v3, s12
	s_mov_b64 s[8:9], exec
	v_lshrrev_b32_e32 v3, 21, v3
	s_or_saveexec_b64 s[10:11], s[10:11]
                                        ; implicit-def: $sgpr12
	s_xor_b64 exec, exec, s[10:11]
	s_cbranch_execnz .LBB11_175
.LBB11_64:
	s_or_b64 exec, exec, s[10:11]
	v_mov_b32_e32 v6, s12
	s_and_saveexec_b64 s[10:11], s[8:9]
.LBB11_65:
	v_lshrrev_b32_e32 v2, 24, v2
	s_movk_i32 s8, 0x80
	v_and_or_b32 v6, v2, s8, v3
.LBB11_66:
	s_or_b64 exec, exec, s[10:11]
.LBB11_67:
	s_or_b64 exec, exec, s[6:7]
	s_mov_b64 s[6:7], 0
	global_store_byte v[4:5], v6, off
.LBB11_68:
	s_and_b64 vcc, exec, s[6:7]
	s_cbranch_vccz .LBB11_78
; %bb.69:
	v_cvt_f32_f64_e32 v2, v[0:1]
	v_and_b32_e32 v6, 0x7fffffff, v2
	s_mov_b32 s6, 0x43f00000
	v_cmp_gt_u32_e32 vcc, s6, v6
                                        ; implicit-def: $vgpr3
	s_and_saveexec_b64 s[6:7], vcc
	s_xor_b64 s[6:7], exec, s[6:7]
	s_cbranch_execz .LBB11_75
; %bb.70:
	s_mov_b32 s8, 0x3c7fffff
	v_cmp_lt_u32_e32 vcc, s8, v6
                                        ; implicit-def: $vgpr3
	s_and_saveexec_b64 s[8:9], vcc
	s_xor_b64 s[8:9], exec, s[8:9]
; %bb.71:
	v_bfe_u32 v3, v2, 20, 1
	s_mov_b32 s10, 0x407ffff
	v_add3_u32 v3, v2, v3, s10
	v_lshrrev_b32_e32 v6, 20, v3
	v_and_b32_e32 v3, 0xff00000, v3
	s_mov_b32 s10, 0x7f00000
	v_mov_b32_e32 v7, 0x7e
	v_cmp_ne_u32_e32 vcc, s10, v3
	v_cndmask_b32_e32 v3, v7, v6, vcc
; %bb.72:
	s_andn2_saveexec_b64 s[8:9], s[8:9]
; %bb.73:
	s_mov_b32 s10, 0x46800000
	v_add_f32_e64 v3, |v2|, s10
; %bb.74:
	s_or_b64 exec, exec, s[8:9]
                                        ; implicit-def: $vgpr6
.LBB11_75:
	s_andn2_saveexec_b64 s[6:7], s[6:7]
; %bb.76:
	s_mov_b32 s8, 0x7f800000
	v_mov_b32_e32 v3, 0x7e
	v_mov_b32_e32 v7, 0x7f
	v_cmp_lt_u32_e32 vcc, s8, v6
	v_cndmask_b32_e32 v3, v3, v7, vcc
; %bb.77:
	s_or_b64 exec, exec, s[6:7]
	v_lshrrev_b32_e32 v2, 24, v2
	s_movk_i32 s6, 0x80
	v_and_or_b32 v2, v2, s6, v3
	global_store_byte v[4:5], v2, off
.LBB11_78:
	s_mov_b64 s[6:7], 0
.LBB11_79:
	s_andn2_b64 vcc, exec, s[6:7]
	s_cbranch_vccnz .LBB11_89
; %bb.80:
	v_cvt_f32_f64_e32 v2, v[0:1]
	v_and_b32_e32 v6, 0x7fffffff, v2
	s_mov_b32 s6, 0x47800000
	v_cmp_gt_u32_e32 vcc, s6, v6
                                        ; implicit-def: $vgpr3
	s_and_saveexec_b64 s[6:7], vcc
	s_xor_b64 s[6:7], exec, s[6:7]
	s_cbranch_execz .LBB11_86
; %bb.81:
	s_mov_b32 s8, 0x387fffff
	v_cmp_lt_u32_e32 vcc, s8, v6
                                        ; implicit-def: $vgpr3
	s_and_saveexec_b64 s[8:9], vcc
	s_xor_b64 s[8:9], exec, s[8:9]
; %bb.82:
	v_bfe_u32 v3, v2, 21, 1
	s_mov_b32 s10, 0x80fffff
	v_add3_u32 v3, v2, v3, s10
	v_lshrrev_b32_e32 v3, 21, v3
; %bb.83:
	s_andn2_saveexec_b64 s[8:9], s[8:9]
; %bb.84:
	s_mov_b32 s10, 0x43000000
	v_add_f32_e64 v3, |v2|, s10
; %bb.85:
	s_or_b64 exec, exec, s[8:9]
                                        ; implicit-def: $vgpr6
.LBB11_86:
	s_andn2_saveexec_b64 s[6:7], s[6:7]
; %bb.87:
	s_mov_b32 s8, 0x7f800000
	v_mov_b32_e32 v3, 0x7c
	v_mov_b32_e32 v7, 0x7f
	v_cmp_lt_u32_e32 vcc, s8, v6
	v_cndmask_b32_e32 v3, v3, v7, vcc
; %bb.88:
	s_or_b64 exec, exec, s[6:7]
	v_lshrrev_b32_e32 v2, 24, v2
	s_movk_i32 s6, 0x80
	v_and_or_b32 v2, v2, s6, v3
	global_store_byte v[4:5], v2, off
.LBB11_89:
	s_mov_b64 s[8:9], 0
	s_mov_b64 s[6:7], -1
.LBB11_90:
	s_andn2_b64 vcc, exec, s[8:9]
	s_cbranch_vccnz .LBB11_98
; %bb.91:
	v_mov_b32_e32 v2, 14
	v_cmp_gt_i16_sdwa s[10:11], v41, v2 src0_sel:BYTE_0 src1_sel:DWORD
	s_mov_b64 s[8:9], -1
	s_and_b64 vcc, exec, s[10:11]
	s_cbranch_vccz .LBB11_95
; %bb.92:
	v_mov_b32_e32 v2, 15
	v_cmp_eq_u16_sdwa s[8:9], v41, v2 src0_sel:BYTE_0 src1_sel:DWORD
	s_mov_b64 s[4:5], -1
	s_and_b64 vcc, exec, s[8:9]
	s_cbranch_vccz .LBB11_94
; %bb.93:
	v_cvt_f32_f64_e32 v2, v[0:1]
	v_bfe_u32 v3, v2, 16, 1
	s_movk_i32 s4, 0x7fff
	v_add3_u32 v3, v2, v3, s4
	v_lshrrev_b32_e32 v3, 16, v3
	v_mov_b32_e32 v6, 0x7fc0
	v_cmp_o_f32_e32 vcc, v2, v2
	v_cndmask_b32_e32 v2, v6, v3, vcc
	global_store_short v[4:5], v2, off
	s_mov_b64 s[6:7], -1
	s_mov_b64 s[4:5], 0
.LBB11_94:
	s_mov_b64 s[8:9], 0
.LBB11_95:
	s_and_b64 vcc, exec, s[8:9]
	s_cbranch_vccz .LBB11_98
; %bb.96:
	v_mov_b32_e32 v2, 11
	v_cmp_eq_u16_sdwa s[8:9], v41, v2 src0_sel:BYTE_0 src1_sel:DWORD
	s_mov_b64 s[4:5], -1
	s_and_b64 vcc, exec, s[8:9]
	s_cbranch_vccz .LBB11_98
; %bb.97:
	v_cmp_neq_f64_e32 vcc, 0, v[0:1]
	s_mov_b64 s[4:5], 0
	v_cndmask_b32_e64 v2, 0, 1, vcc
	s_mov_b64 s[6:7], -1
	global_store_byte v[4:5], v2, off
.LBB11_98:
	s_branch .LBB11_25
.LBB11_99:
	v_mov_b32_e32 v2, 5
	v_cmp_lt_i16_sdwa s[8:9], v41, v2 src0_sel:BYTE_0 src1_sel:DWORD
	s_mov_b64 s[6:7], -1
	s_and_b64 vcc, exec, s[8:9]
	s_cbranch_vccnz .LBB11_120
; %bb.100:
	v_mov_b32_e32 v2, 8
	v_cmp_lt_i16_sdwa s[8:9], v41, v2 src0_sel:BYTE_0 src1_sel:DWORD
	s_and_b64 vcc, exec, s[8:9]
	s_cbranch_vccnz .LBB11_110
; %bb.101:
	v_mov_b32_e32 v2, 9
	v_cmp_lt_i16_sdwa s[8:9], v41, v2 src0_sel:BYTE_0 src1_sel:DWORD
	s_and_b64 vcc, exec, s[8:9]
	s_cbranch_vccnz .LBB11_107
; %bb.102:
	v_cmp_gt_i16_sdwa s[8:9], v41, v2 src0_sel:BYTE_0 src1_sel:DWORD
	s_and_b64 vcc, exec, s[8:9]
	s_cbranch_vccz .LBB11_104
; %bb.103:
	v_mov_b32_e32 v2, 0
	v_mov_b32_e32 v3, v2
	global_store_dwordx4 v[4:5], v[0:3], off
	s_mov_b64 s[6:7], 0
.LBB11_104:
	s_andn2_b64 vcc, exec, s[6:7]
	s_cbranch_vccnz .LBB11_106
; %bb.105:
	v_cvt_f32_f64_e32 v2, v[0:1]
	v_mov_b32_e32 v3, 0
	global_store_dwordx2 v[4:5], v[2:3], off
.LBB11_106:
	s_mov_b64 s[6:7], 0
.LBB11_107:
	s_andn2_b64 vcc, exec, s[6:7]
	s_cbranch_vccnz .LBB11_109
; %bb.108:
	v_cvt_f32_f64_e32 v2, v[0:1]
	v_cvt_f16_f32_e32 v2, v2
	global_store_dword v[4:5], v2, off
.LBB11_109:
	s_mov_b64 s[6:7], 0
.LBB11_110:
	s_andn2_b64 vcc, exec, s[6:7]
	s_cbranch_vccnz .LBB11_119
; %bb.111:
	v_mov_b32_e32 v2, 6
	v_cmp_lt_i16_sdwa s[8:9], v41, v2 src0_sel:BYTE_0 src1_sel:DWORD
	s_mov_b64 s[6:7], -1
	s_and_b64 vcc, exec, s[8:9]
	s_cbranch_vccnz .LBB11_117
; %bb.112:
	v_cmp_gt_i16_sdwa s[8:9], v41, v2 src0_sel:BYTE_0 src1_sel:DWORD
	s_and_b64 vcc, exec, s[8:9]
	s_cbranch_vccz .LBB11_114
; %bb.113:
	global_store_dwordx2 v[4:5], v[0:1], off
	s_mov_b64 s[6:7], 0
.LBB11_114:
	s_andn2_b64 vcc, exec, s[6:7]
	s_cbranch_vccnz .LBB11_116
; %bb.115:
	v_cvt_f32_f64_e32 v2, v[0:1]
	global_store_dword v[4:5], v2, off
.LBB11_116:
	s_mov_b64 s[6:7], 0
.LBB11_117:
	s_andn2_b64 vcc, exec, s[6:7]
	s_cbranch_vccnz .LBB11_119
; %bb.118:
	v_cvt_f32_f64_e32 v2, v[0:1]
	v_cvt_f16_f32_e32 v2, v2
	global_store_short v[4:5], v2, off
.LBB11_119:
	s_mov_b64 s[6:7], 0
.LBB11_120:
	s_andn2_b64 vcc, exec, s[6:7]
	s_cbranch_vccnz .LBB11_136
; %bb.121:
	v_mov_b32_e32 v2, 2
	v_cmp_lt_i16_sdwa s[8:9], v41, v2 src0_sel:BYTE_0 src1_sel:DWORD
	s_mov_b64 s[6:7], -1
	s_and_b64 vcc, exec, s[8:9]
	s_cbranch_vccnz .LBB11_131
; %bb.122:
	v_mov_b32_e32 v2, 3
	v_cmp_lt_i16_sdwa s[8:9], v41, v2 src0_sel:BYTE_0 src1_sel:DWORD
	s_and_b64 vcc, exec, s[8:9]
	s_cbranch_vccnz .LBB11_128
; %bb.123:
	v_cmp_gt_i16_sdwa s[8:9], v41, v2 src0_sel:BYTE_0 src1_sel:DWORD
	s_and_b64 vcc, exec, s[8:9]
	s_cbranch_vccz .LBB11_125
; %bb.124:
	v_trunc_f64_e32 v[2:3], v[0:1]
	s_movk_i32 s6, 0xffe0
	v_ldexp_f64 v[6:7], v[2:3], s6
	v_floor_f64_e32 v[6:7], v[6:7]
	v_fmac_f64_e32 v[2:3], 0xc1f00000, v[6:7]
	v_cvt_i32_f64_e32 v9, v[6:7]
	v_cvt_u32_f64_e32 v8, v[2:3]
	global_store_dwordx2 v[4:5], v[8:9], off
	s_mov_b64 s[6:7], 0
.LBB11_125:
	s_andn2_b64 vcc, exec, s[6:7]
	s_cbranch_vccnz .LBB11_127
; %bb.126:
	v_cvt_i32_f64_e32 v2, v[0:1]
	global_store_dword v[4:5], v2, off
.LBB11_127:
	s_mov_b64 s[6:7], 0
.LBB11_128:
	s_andn2_b64 vcc, exec, s[6:7]
	s_cbranch_vccnz .LBB11_130
; %bb.129:
	v_cvt_i32_f64_e32 v2, v[0:1]
	global_store_short v[4:5], v2, off
.LBB11_130:
	s_mov_b64 s[6:7], 0
.LBB11_131:
	s_andn2_b64 vcc, exec, s[6:7]
	s_cbranch_vccnz .LBB11_136
; %bb.132:
	v_mov_b32_e32 v2, 0
	v_cmp_gt_i16_sdwa s[8:9], v41, v2 src0_sel:BYTE_0 src1_sel:DWORD
	s_mov_b64 s[6:7], -1
	s_and_b64 vcc, exec, s[8:9]
	s_cbranch_vccz .LBB11_134
; %bb.133:
	v_cvt_i32_f64_e32 v2, v[0:1]
	global_store_byte v[4:5], v2, off
	s_mov_b64 s[6:7], 0
.LBB11_134:
	s_andn2_b64 vcc, exec, s[6:7]
	s_cbranch_vccnz .LBB11_136
; %bb.135:
	v_trunc_f64_e32 v[0:1], v[0:1]
	s_movk_i32 s6, 0xffe0
	v_ldexp_f64 v[2:3], v[0:1], s6
	v_floor_f64_e32 v[2:3], v[2:3]
	v_fmac_f64_e32 v[0:1], 0xc1f00000, v[2:3]
	v_cvt_u32_f64_e32 v0, v[0:1]
	global_store_byte v[4:5], v0, off
.LBB11_136:
	s_branch .LBB11_26
.LBB11_137:
	s_mov_b64 s[6:7], 0
                                        ; implicit-def: $vgpr40
.LBB11_138:
	s_and_b64 s[68:69], s[4:5], exec
	s_orn2_b64 s[4:5], s[6:7], exec
.LBB11_139:
	s_or_b64 exec, exec, s[70:71]
	s_mov_b64 s[6:7], 0
                                        ; implicit-def: $vgpr6
                                        ; implicit-def: $vgpr4_vgpr5
                                        ; implicit-def: $vgpr0_vgpr1
	s_and_saveexec_b64 s[70:71], s[4:5]
	s_cbranch_execz .LBB11_147
; %bb.140:
	v_cmp_gt_i32_e32 vcc, s80, v40
	s_mov_b64 s[8:9], -1
	s_mov_b64 s[72:73], s[68:69]
	s_and_saveexec_b64 s[74:75], vcc
	s_cbranch_execz .LBB11_286
; %bb.141:
	s_andn2_b64 vcc, exec, s[56:57]
	s_cbranch_vccnz .LBB11_150
; %bb.142:
	s_mov_b32 s24, 0
	s_andn2_b64 vcc, exec, s[66:67]
	v_mov_b32_e32 v2, 0
	v_mov_b32_e32 v38, 0
	s_cbranch_vccnz .LBB11_156
; %bb.143:
	s_add_i32 s30, s83, 1
	s_cmp_eq_u32 s82, 2
	s_cbranch_scc1 .LBB11_151
; %bb.144:
	s_and_b32 s24, s30, 28
	s_mov_b32 s25, 0
	v_mov_b32_e32 v38, 0
	s_mov_b64 s[26:27], s[52:53]
	s_mov_b64 s[28:29], s[64:65]
	v_mov_b32_e32 v0, v40
	v_mov_b32_e32 v2, 0
.LBB11_145:                             ; =>This Inner Loop Header: Depth=1
	s_load_dwordx8 s[12:19], s[26:27], 0x4
	s_load_dwordx4 s[20:23], s[26:27], 0x24
	s_load_dwordx8 s[4:11], s[28:29], 0x0
	s_add_u32 s26, s26, 48
	s_addc_u32 s27, s27, 0
	s_waitcnt lgkmcnt(0)
	v_mul_hi_u32 v1, s13, v0
	v_add_u32_e32 v1, v0, v1
	v_lshrrev_b32_e32 v1, s14, v1
	v_mul_lo_u32 v3, v1, s12
	v_mul_hi_u32 v4, s16, v1
	v_sub_u32_e32 v0, v0, v3
	v_add_u32_e32 v3, v1, v4
	v_lshrrev_b32_e32 v3, s17, v3
	v_mul_lo_u32 v5, v3, s15
	v_mul_hi_u32 v6, s19, v3
	v_sub_u32_e32 v1, v1, v5
	v_add_u32_e32 v5, v3, v6
	v_mul_lo_u32 v4, v0, s5
	v_mul_lo_u32 v0, v0, s4
	;; [unrolled: 1-line block ×4, first 2 shown]
	v_lshrrev_b32_e32 v5, s20, v5
	v_add3_u32 v1, v0, v38, v1
	v_add3_u32 v2, v4, v2, v6
	v_mul_lo_u32 v0, v5, s18
	v_mul_hi_u32 v4, s22, v5
	v_sub_u32_e32 v0, v3, v0
	v_add_u32_e32 v3, v5, v4
	v_mul_lo_u32 v4, v0, s8
	v_mul_lo_u32 v6, v0, s9
	v_lshrrev_b32_e32 v0, s23, v3
	s_add_i32 s25, s25, 4
	v_mul_lo_u32 v3, v0, s21
	s_add_u32 s28, s28, 32
	v_sub_u32_e32 v3, v5, v3
	s_addc_u32 s29, s29, 0
	v_mul_lo_u32 v5, v3, s10
	v_mul_lo_u32 v3, v3, s11
	s_cmp_eq_u32 s24, s25
	v_add3_u32 v2, v6, v2, v3
	v_add3_u32 v38, v4, v1, v5
	s_cbranch_scc0 .LBB11_145
; %bb.146:
	v_mov_b32_e32 v39, v2
	s_branch .LBB11_152
.LBB11_147:
	s_or_b64 exec, exec, s[70:71]
	s_mov_b64 s[4:5], 0
	s_and_saveexec_b64 s[8:9], s[68:69]
	s_cbranch_execnz .LBB11_530
.LBB11_148:
	s_or_b64 exec, exec, s[8:9]
	s_and_saveexec_b64 s[8:9], s[74:75]
	s_xor_b64 s[8:9], exec, s[8:9]
	s_cbranch_execz .LBB11_531
.LBB11_149:
	v_cmp_neq_f64_e32 vcc, 0, v[0:1]
	v_cndmask_b32_e64 v2, 0, 1, vcc
	global_store_byte v[4:5], v2, off
	s_or_b64 exec, exec, s[8:9]
	s_and_saveexec_b64 s[8:9], s[6:7]
	s_xor_b64 s[6:7], exec, s[8:9]
	s_cbranch_execz .LBB11_569
	s_branch .LBB11_532
.LBB11_150:
                                        ; implicit-def: $vgpr2
                                        ; implicit-def: $vgpr38
	s_branch .LBB11_157
.LBB11_151:
	s_mov_b32 s25, s24
	v_pk_mov_b32 v[38:39], s[24:25], s[24:25] op_sel:[0,1]
                                        ; implicit-def: $vgpr2
	v_mov_b32_e32 v0, v40
.LBB11_152:
	s_and_b32 s8, s30, 3
	s_cmp_eq_u32 s8, 0
	s_cbranch_scc1 .LBB11_156
; %bb.153:
	s_lshl_b32 s4, s24, 3
	s_add_u32 s4, s4, s52
	s_addc_u32 s5, s53, 0
	s_add_u32 s4, s4, 0xc4
	s_addc_u32 s5, s5, 0
	s_mul_i32 s6, s24, 12
	s_add_u32 s6, s52, s6
	s_addc_u32 s7, s53, 0
.LBB11_154:                             ; =>This Inner Loop Header: Depth=1
	s_load_dwordx2 s[10:11], s[6:7], 0x4
	s_load_dword s9, s[6:7], 0xc
	s_load_dwordx2 s[12:13], s[4:5], 0x0
	s_add_u32 s6, s6, 12
	s_addc_u32 s7, s7, 0
	s_waitcnt lgkmcnt(0)
	v_mul_hi_u32 v1, s11, v0
	v_add_u32_e32 v1, v0, v1
	v_lshrrev_b32_e32 v1, s9, v1
	v_mul_lo_u32 v3, v1, s10
	v_mov_b32_e32 v2, v39
	s_add_u32 s4, s4, 8
	v_sub_u32_e32 v4, v0, v3
	s_addc_u32 s5, s5, 0
	s_add_i32 s8, s8, -1
	v_mad_u64_u32 v[2:3], s[10:11], v4, s13, v[2:3]
	v_mad_u64_u32 v[38:39], s[10:11], v4, s12, v[38:39]
	s_cmp_lg_u32 s8, 0
	v_mov_b32_e32 v0, v1
	v_mov_b32_e32 v39, v2
	s_cbranch_scc1 .LBB11_154
; %bb.155:
	v_mov_b32_e32 v2, v39
.LBB11_156:
	s_cbranch_execnz .LBB11_159
.LBB11_157:
	s_waitcnt lgkmcnt(0)
	v_mul_hi_u32 v0, s49, v40
	v_add_u32_e32 v0, v40, v0
	v_lshrrev_b32_e32 v0, s50, v0
	v_mul_lo_u32 v1, v0, s48
	v_sub_u32_e32 v1, v40, v1
	v_mul_lo_u32 v2, v1, s45
	s_andn2_b64 vcc, exec, s[62:63]
	v_mul_lo_u32 v38, v1, s44
	s_cbranch_vccnz .LBB11_159
; %bb.158:
	v_mul_hi_u32 v1, s60, v0
	v_add_u32_e32 v1, v0, v1
	v_lshrrev_b32_e32 v1, s61, v1
	v_mul_lo_u32 v1, v1, s51
	v_sub_u32_e32 v0, v0, v1
	v_mad_u64_u32 v[38:39], s[4:5], v0, s46, v[38:39]
	v_mad_u64_u32 v[2:3], s[4:5], v0, s47, v[2:3]
.LBB11_159:
	s_waitcnt lgkmcnt(0)
	v_mov_b32_e32 v0, s42
	v_mov_b32_e32 v1, s43
	;; [unrolled: 1-line block ×3, first 2 shown]
	s_getpc_b64 s[4:5]
	s_add_u32 s4, s4, _ZN2at6native6invokeIZZZNS0_12_GLOBAL__N_119airy_ai_kernel_cudaERNS_18TensorIteratorBaseEENKUlvE_clEvENKUlvE_clEvEUldE_j15function_traitsIS7_EEENT1_11result_typeERKT_PrKPcPKT0_PKN3c1010ScalarTypeEi@rel32@lo+4
	s_addc_u32 s5, s5, _ZN2at6native6invokeIZZZNS0_12_GLOBAL__N_119airy_ai_kernel_cudaERNS_18TensorIteratorBaseEENKUlvE_clEvENKUlvE_clEvEUldE_j15function_traitsIS7_EEENT1_11result_typeERKT_PrKPcPKT0_PKN3c1010ScalarTypeEi@rel32@hi+12
	s_swappc_b64 s[30:31], s[4:5]
	v_mov_b32_e32 v2, s41
	v_add_co_u32_e32 v4, vcc, s40, v38
	v_addc_co_u32_e32 v5, vcc, 0, v2, vcc
	v_mov_b32_e32 v2, 11
	v_cmp_lt_i16_sdwa s[4:5], v41, v2 src0_sel:BYTE_0 src1_sel:DWORD
	s_and_b64 vcc, exec, s[4:5]
	s_cbranch_vccnz .LBB11_166
; %bb.160:
	v_mov_b32_e32 v2, 25
	v_cmp_gt_i16_sdwa s[4:5], v41, v2 src0_sel:BYTE_0 src1_sel:DWORD
	s_and_b64 vcc, exec, s[4:5]
	s_cbranch_vccz .LBB11_169
; %bb.161:
	v_mov_b32_e32 v2, 28
	v_cmp_gt_i16_sdwa s[4:5], v41, v2 src0_sel:BYTE_0 src1_sel:DWORD
	s_and_b64 vcc, exec, s[4:5]
	s_cbranch_vccz .LBB11_170
	;; [unrolled: 5-line block ×4, first 2 shown]
; %bb.164:
	v_mov_b32_e32 v2, 46
	v_cmp_eq_u16_sdwa s[6:7], v41, v2 src0_sel:BYTE_0 src1_sel:DWORD
	s_mov_b64 s[8:9], 0
	s_mov_b64 s[4:5], -1
	s_and_b64 vcc, exec, s[6:7]
	s_mov_b64 s[6:7], 0
	s_cbranch_vccz .LBB11_177
; %bb.165:
	v_cvt_f32_f64_e32 v2, v[0:1]
	v_bfe_u32 v3, v2, 16, 1
	s_movk_i32 s4, 0x7fff
	v_add3_u32 v3, v2, v3, s4
	v_lshrrev_b32_e32 v3, 16, v3
	v_mov_b32_e32 v6, 0x7fc0
	v_cmp_o_f32_e32 vcc, v2, v2
	v_cndmask_b32_e32 v2, v6, v3, vcc
	global_store_dword v[4:5], v2, off
	s_mov_b64 s[6:7], -1
	s_mov_b64 s[4:5], 0
	s_branch .LBB11_177
.LBB11_166:
	s_mov_b64 s[6:7], 0
	s_mov_b64 s[4:5], s[68:69]
	s_cbranch_execnz .LBB11_246
.LBB11_167:
	s_andn2_b64 vcc, exec, s[6:7]
	s_cbranch_vccnz .LBB11_284
.LBB11_168:
	v_add_u32_e32 v40, 0x80, v40
	s_mov_b64 s[6:7], -1
	s_branch .LBB11_285
.LBB11_169:
	s_mov_b64 s[8:9], -1
	s_mov_b64 s[6:7], 0
	s_mov_b64 s[4:5], s[68:69]
	s_branch .LBB11_204
.LBB11_170:
	s_mov_b64 s[8:9], -1
	s_mov_b64 s[6:7], 0
	s_mov_b64 s[4:5], s[68:69]
	s_branch .LBB11_187
.LBB11_171:
	s_or_saveexec_b64 s[10:11], s[10:11]
                                        ; implicit-def: $sgpr12
	s_xor_b64 exec, exec, s[10:11]
	s_cbranch_execz .LBB11_52
.LBB11_172:
	s_mov_b32 s12, 0x46000000
	v_add_f32_e64 v3, |v2|, s12
	v_and_b32_e32 v3, 0xff, v3
	v_cmp_ne_u32_e32 vcc, 0, v3
	s_andn2_b64 s[8:9], s[8:9], exec
	s_and_b64 s[14:15], vcc, exec
	s_mov_b32 s12, 0
	s_or_b64 s[8:9], s[8:9], s[14:15]
	s_or_b64 exec, exec, s[10:11]
	v_mov_b32_e32 v6, s12
	s_and_saveexec_b64 s[10:11], s[8:9]
	s_cbranch_execnz .LBB11_53
	s_branch .LBB11_54
.LBB11_173:
	s_mov_b64 s[8:9], -1
	s_mov_b64 s[6:7], 0
	s_mov_b64 s[4:5], s[68:69]
	s_branch .LBB11_183
.LBB11_174:
	s_or_saveexec_b64 s[10:11], s[10:11]
                                        ; implicit-def: $sgpr12
	s_xor_b64 exec, exec, s[10:11]
	s_cbranch_execz .LBB11_64
.LBB11_175:
	s_mov_b32 s12, 0x42800000
	v_add_f32_e64 v3, |v2|, s12
	v_and_b32_e32 v3, 0xff, v3
	v_cmp_ne_u32_e32 vcc, 0, v3
	s_andn2_b64 s[8:9], s[8:9], exec
	s_and_b64 s[14:15], vcc, exec
	s_mov_b32 s12, 0
	s_or_b64 s[8:9], s[8:9], s[14:15]
	s_or_b64 exec, exec, s[10:11]
	v_mov_b32_e32 v6, s12
	s_and_saveexec_b64 s[10:11], s[8:9]
	s_cbranch_execnz .LBB11_65
	s_branch .LBB11_66
.LBB11_176:
	s_mov_b64 s[8:9], -1
	s_mov_b64 s[6:7], 0
	s_mov_b64 s[4:5], s[68:69]
.LBB11_177:
	s_and_b64 vcc, exec, s[8:9]
	s_cbranch_vccz .LBB11_182
; %bb.178:
	v_mov_b32_e32 v2, 44
	v_cmp_eq_u16_sdwa s[8:9], v41, v2 src0_sel:BYTE_0 src1_sel:DWORD
	s_mov_b64 s[4:5], -1
	s_and_b64 vcc, exec, s[8:9]
	s_cbranch_vccz .LBB11_182
; %bb.179:
	v_cvt_f32_f64_e32 v2, v[0:1]
	v_bfe_u32 v3, v2, 23, 8
	s_movk_i32 s4, 0xff
	v_cmp_ne_u32_e32 vcc, s4, v3
	v_mov_b32_e32 v6, 0xff
	s_and_saveexec_b64 s[6:7], vcc
; %bb.180:
	s_mov_b32 s4, 0x3fffff
	v_lshrrev_b32_e32 v6, 23, v2
	v_and_b32_e32 v7, 0x400000, v2
	v_and_or_b32 v2, v2, s4, v3
	v_cmp_ne_u32_e32 vcc, 0, v7
	v_cmp_ne_u32_e64 s[4:5], 0, v2
	s_and_b64 s[4:5], vcc, s[4:5]
	v_cndmask_b32_e64 v2, 0, 1, s[4:5]
	v_add_u32_e32 v6, v6, v2
; %bb.181:
	s_or_b64 exec, exec, s[6:7]
	s_mov_b64 s[6:7], -1
	s_mov_b64 s[4:5], 0
	global_store_byte v[4:5], v6, off
.LBB11_182:
	s_mov_b64 s[8:9], 0
.LBB11_183:
	s_and_b64 vcc, exec, s[8:9]
	s_cbranch_vccz .LBB11_186
; %bb.184:
	v_mov_b32_e32 v2, 29
	v_cmp_eq_u16_sdwa s[8:9], v41, v2 src0_sel:BYTE_0 src1_sel:DWORD
	s_mov_b64 s[4:5], -1
	s_and_b64 vcc, exec, s[8:9]
	s_cbranch_vccz .LBB11_186
; %bb.185:
	v_trunc_f64_e32 v[2:3], v[0:1]
	s_movk_i32 s4, 0xffe0
	v_ldexp_f64 v[6:7], v[2:3], s4
	v_floor_f64_e32 v[6:7], v[6:7]
	v_fmac_f64_e32 v[2:3], 0xc1f00000, v[6:7]
	v_cvt_u32_f64_e32 v9, v[6:7]
	v_cvt_u32_f64_e32 v8, v[2:3]
	global_store_dwordx2 v[4:5], v[8:9], off
	s_mov_b64 s[6:7], -1
	s_mov_b64 s[4:5], 0
.LBB11_186:
	s_mov_b64 s[8:9], 0
.LBB11_187:
	s_and_b64 vcc, exec, s[8:9]
	s_cbranch_vccz .LBB11_203
; %bb.188:
	v_mov_b32_e32 v2, 27
	v_cmp_lt_i16_sdwa s[8:9], v41, v2 src0_sel:BYTE_0 src1_sel:DWORD
	s_mov_b64 s[6:7], -1
	s_and_b64 vcc, exec, s[8:9]
	s_cbranch_vccnz .LBB11_194
; %bb.189:
	v_cmp_gt_i16_sdwa s[8:9], v41, v2 src0_sel:BYTE_0 src1_sel:DWORD
	s_and_b64 vcc, exec, s[8:9]
	v_cvt_u32_f64_e32 v2, v[0:1]
	s_cbranch_vccz .LBB11_191
; %bb.190:
	s_mov_b64 s[6:7], 0
	global_store_dword v[4:5], v2, off
.LBB11_191:
	s_andn2_b64 vcc, exec, s[6:7]
	s_cbranch_vccnz .LBB11_193
; %bb.192:
	global_store_short v[4:5], v2, off
.LBB11_193:
	s_mov_b64 s[6:7], 0
.LBB11_194:
	s_andn2_b64 vcc, exec, s[6:7]
	s_cbranch_vccnz .LBB11_202
; %bb.195:
	v_cvt_f32_f64_e32 v2, v[0:1]
	v_and_b32_e32 v3, 0x7fffffff, v2
	s_mov_b32 s6, 0x43800000
	v_cmp_gt_u32_e32 vcc, s6, v3
	v_mov_b32_e32 v6, 0x80
	s_and_saveexec_b64 s[6:7], vcc
	s_cbranch_execz .LBB11_201
; %bb.196:
	s_mov_b32 s8, 0x3bffffff
	v_cmp_lt_u32_e32 vcc, s8, v3
	s_mov_b64 s[8:9], 0
                                        ; implicit-def: $vgpr3
	s_and_saveexec_b64 s[10:11], vcc
	s_xor_b64 s[10:11], exec, s[10:11]
	s_cbranch_execz .LBB11_314
; %bb.197:
	v_bfe_u32 v3, v2, 20, 1
	s_mov_b32 s12, 0x487ffff
	v_add3_u32 v3, v2, v3, s12
	s_mov_b64 s[8:9], exec
	v_lshrrev_b32_e32 v3, 20, v3
	s_or_saveexec_b64 s[10:11], s[10:11]
                                        ; implicit-def: $sgpr12
	s_xor_b64 exec, exec, s[10:11]
	s_cbranch_execnz .LBB11_315
.LBB11_198:
	s_or_b64 exec, exec, s[10:11]
	v_mov_b32_e32 v6, s12
	s_and_saveexec_b64 s[10:11], s[8:9]
.LBB11_199:
	v_lshrrev_b32_e32 v2, 24, v2
	s_movk_i32 s8, 0x80
	v_and_or_b32 v6, v2, s8, v3
.LBB11_200:
	s_or_b64 exec, exec, s[10:11]
.LBB11_201:
	s_or_b64 exec, exec, s[6:7]
	global_store_byte v[4:5], v6, off
.LBB11_202:
	s_mov_b64 s[6:7], -1
.LBB11_203:
	s_mov_b64 s[8:9], 0
.LBB11_204:
	s_and_b64 vcc, exec, s[8:9]
	s_cbranch_vccz .LBB11_245
; %bb.205:
	v_mov_b32_e32 v2, 22
	v_cmp_gt_i16_sdwa s[10:11], v41, v2 src0_sel:BYTE_0 src1_sel:DWORD
	s_mov_b64 s[8:9], -1
	s_and_b64 vcc, exec, s[10:11]
	s_cbranch_vccz .LBB11_237
; %bb.206:
	v_mov_b32_e32 v2, 24
	v_cmp_lt_i16_sdwa s[8:9], v41, v2 src0_sel:BYTE_0 src1_sel:DWORD
	s_mov_b64 s[6:7], -1
	s_and_b64 vcc, exec, s[8:9]
	s_cbranch_vccnz .LBB11_226
; %bb.207:
	v_cmp_gt_i16_sdwa s[8:9], v41, v2 src0_sel:BYTE_0 src1_sel:DWORD
	s_and_b64 vcc, exec, s[8:9]
	s_cbranch_vccz .LBB11_215
; %bb.208:
	v_cvt_f32_f64_e32 v2, v[0:1]
	v_and_b32_e32 v3, 0x7fffffff, v2
	s_mov_b32 s6, 0x47800000
	v_cmp_gt_u32_e32 vcc, s6, v3
	v_mov_b32_e32 v6, 0x80
	s_and_saveexec_b64 s[6:7], vcc
	s_cbranch_execz .LBB11_214
; %bb.209:
	s_mov_b32 s8, 0x37ffffff
	v_cmp_lt_u32_e32 vcc, s8, v3
	s_mov_b64 s[8:9], 0
                                        ; implicit-def: $vgpr3
	s_and_saveexec_b64 s[10:11], vcc
	s_xor_b64 s[10:11], exec, s[10:11]
	s_cbranch_execz .LBB11_317
; %bb.210:
	v_bfe_u32 v3, v2, 21, 1
	s_mov_b32 s12, 0x88fffff
	v_add3_u32 v3, v2, v3, s12
	s_mov_b64 s[8:9], exec
	v_lshrrev_b32_e32 v3, 21, v3
	s_or_saveexec_b64 s[10:11], s[10:11]
                                        ; implicit-def: $sgpr12
	s_xor_b64 exec, exec, s[10:11]
	s_cbranch_execnz .LBB11_318
.LBB11_211:
	s_or_b64 exec, exec, s[10:11]
	v_mov_b32_e32 v6, s12
	s_and_saveexec_b64 s[10:11], s[8:9]
.LBB11_212:
	v_lshrrev_b32_e32 v2, 24, v2
	s_movk_i32 s8, 0x80
	v_and_or_b32 v6, v2, s8, v3
.LBB11_213:
	s_or_b64 exec, exec, s[10:11]
.LBB11_214:
	s_or_b64 exec, exec, s[6:7]
	s_mov_b64 s[6:7], 0
	global_store_byte v[4:5], v6, off
.LBB11_215:
	s_and_b64 vcc, exec, s[6:7]
	s_cbranch_vccz .LBB11_225
; %bb.216:
	v_cvt_f32_f64_e32 v2, v[0:1]
	v_and_b32_e32 v6, 0x7fffffff, v2
	s_mov_b32 s6, 0x43f00000
	v_cmp_gt_u32_e32 vcc, s6, v6
                                        ; implicit-def: $vgpr3
	s_and_saveexec_b64 s[6:7], vcc
	s_xor_b64 s[6:7], exec, s[6:7]
	s_cbranch_execz .LBB11_222
; %bb.217:
	s_mov_b32 s8, 0x3c7fffff
	v_cmp_lt_u32_e32 vcc, s8, v6
                                        ; implicit-def: $vgpr3
	s_and_saveexec_b64 s[8:9], vcc
	s_xor_b64 s[8:9], exec, s[8:9]
; %bb.218:
	v_bfe_u32 v3, v2, 20, 1
	s_mov_b32 s10, 0x407ffff
	v_add3_u32 v3, v2, v3, s10
	v_lshrrev_b32_e32 v6, 20, v3
	v_and_b32_e32 v3, 0xff00000, v3
	s_mov_b32 s10, 0x7f00000
	v_mov_b32_e32 v7, 0x7e
	v_cmp_ne_u32_e32 vcc, s10, v3
	v_cndmask_b32_e32 v3, v7, v6, vcc
; %bb.219:
	s_andn2_saveexec_b64 s[8:9], s[8:9]
; %bb.220:
	s_mov_b32 s10, 0x46800000
	v_add_f32_e64 v3, |v2|, s10
; %bb.221:
	s_or_b64 exec, exec, s[8:9]
                                        ; implicit-def: $vgpr6
.LBB11_222:
	s_andn2_saveexec_b64 s[6:7], s[6:7]
; %bb.223:
	s_mov_b32 s8, 0x7f800000
	v_mov_b32_e32 v3, 0x7e
	v_mov_b32_e32 v7, 0x7f
	v_cmp_lt_u32_e32 vcc, s8, v6
	v_cndmask_b32_e32 v3, v3, v7, vcc
; %bb.224:
	s_or_b64 exec, exec, s[6:7]
	v_lshrrev_b32_e32 v2, 24, v2
	s_movk_i32 s6, 0x80
	v_and_or_b32 v2, v2, s6, v3
	global_store_byte v[4:5], v2, off
.LBB11_225:
	s_mov_b64 s[6:7], 0
.LBB11_226:
	s_andn2_b64 vcc, exec, s[6:7]
	s_cbranch_vccnz .LBB11_236
; %bb.227:
	v_cvt_f32_f64_e32 v2, v[0:1]
	v_and_b32_e32 v6, 0x7fffffff, v2
	s_mov_b32 s6, 0x47800000
	v_cmp_gt_u32_e32 vcc, s6, v6
                                        ; implicit-def: $vgpr3
	s_and_saveexec_b64 s[6:7], vcc
	s_xor_b64 s[6:7], exec, s[6:7]
	s_cbranch_execz .LBB11_233
; %bb.228:
	s_mov_b32 s8, 0x387fffff
	v_cmp_lt_u32_e32 vcc, s8, v6
                                        ; implicit-def: $vgpr3
	s_and_saveexec_b64 s[8:9], vcc
	s_xor_b64 s[8:9], exec, s[8:9]
; %bb.229:
	v_bfe_u32 v3, v2, 21, 1
	s_mov_b32 s10, 0x80fffff
	v_add3_u32 v3, v2, v3, s10
	v_lshrrev_b32_e32 v3, 21, v3
; %bb.230:
	s_andn2_saveexec_b64 s[8:9], s[8:9]
; %bb.231:
	s_mov_b32 s10, 0x43000000
	v_add_f32_e64 v3, |v2|, s10
; %bb.232:
	s_or_b64 exec, exec, s[8:9]
                                        ; implicit-def: $vgpr6
.LBB11_233:
	s_andn2_saveexec_b64 s[6:7], s[6:7]
; %bb.234:
	s_mov_b32 s8, 0x7f800000
	v_mov_b32_e32 v3, 0x7c
	v_mov_b32_e32 v7, 0x7f
	v_cmp_lt_u32_e32 vcc, s8, v6
	v_cndmask_b32_e32 v3, v3, v7, vcc
; %bb.235:
	s_or_b64 exec, exec, s[6:7]
	v_lshrrev_b32_e32 v2, 24, v2
	s_movk_i32 s6, 0x80
	v_and_or_b32 v2, v2, s6, v3
	global_store_byte v[4:5], v2, off
.LBB11_236:
	s_mov_b64 s[8:9], 0
	s_mov_b64 s[6:7], -1
.LBB11_237:
	s_andn2_b64 vcc, exec, s[8:9]
	s_cbranch_vccnz .LBB11_245
; %bb.238:
	v_mov_b32_e32 v2, 14
	v_cmp_gt_i16_sdwa s[10:11], v41, v2 src0_sel:BYTE_0 src1_sel:DWORD
	s_mov_b64 s[8:9], -1
	s_and_b64 vcc, exec, s[10:11]
	s_cbranch_vccz .LBB11_242
; %bb.239:
	v_mov_b32_e32 v2, 15
	v_cmp_eq_u16_sdwa s[8:9], v41, v2 src0_sel:BYTE_0 src1_sel:DWORD
	s_mov_b64 s[4:5], -1
	s_and_b64 vcc, exec, s[8:9]
	s_cbranch_vccz .LBB11_241
; %bb.240:
	v_cvt_f32_f64_e32 v2, v[0:1]
	v_bfe_u32 v3, v2, 16, 1
	s_movk_i32 s4, 0x7fff
	v_add3_u32 v3, v2, v3, s4
	v_lshrrev_b32_e32 v3, 16, v3
	v_mov_b32_e32 v6, 0x7fc0
	v_cmp_o_f32_e32 vcc, v2, v2
	v_cndmask_b32_e32 v2, v6, v3, vcc
	global_store_short v[4:5], v2, off
	s_mov_b64 s[6:7], -1
	s_mov_b64 s[4:5], 0
.LBB11_241:
	s_mov_b64 s[8:9], 0
.LBB11_242:
	s_and_b64 vcc, exec, s[8:9]
	s_cbranch_vccz .LBB11_245
; %bb.243:
	v_mov_b32_e32 v2, 11
	v_cmp_eq_u16_sdwa s[8:9], v41, v2 src0_sel:BYTE_0 src1_sel:DWORD
	s_mov_b64 s[4:5], -1
	s_and_b64 vcc, exec, s[8:9]
	s_cbranch_vccz .LBB11_245
; %bb.244:
	v_cmp_neq_f64_e32 vcc, 0, v[0:1]
	s_mov_b64 s[4:5], 0
	v_cndmask_b32_e64 v2, 0, 1, vcc
	s_mov_b64 s[6:7], -1
	global_store_byte v[4:5], v2, off
.LBB11_245:
	s_branch .LBB11_167
.LBB11_246:
	v_mov_b32_e32 v2, 5
	v_cmp_lt_i16_sdwa s[8:9], v41, v2 src0_sel:BYTE_0 src1_sel:DWORD
	s_mov_b64 s[6:7], -1
	s_and_b64 vcc, exec, s[8:9]
	s_cbranch_vccnz .LBB11_267
; %bb.247:
	v_mov_b32_e32 v2, 8
	v_cmp_lt_i16_sdwa s[8:9], v41, v2 src0_sel:BYTE_0 src1_sel:DWORD
	s_and_b64 vcc, exec, s[8:9]
	s_cbranch_vccnz .LBB11_257
; %bb.248:
	v_mov_b32_e32 v2, 9
	v_cmp_lt_i16_sdwa s[8:9], v41, v2 src0_sel:BYTE_0 src1_sel:DWORD
	s_and_b64 vcc, exec, s[8:9]
	s_cbranch_vccnz .LBB11_254
; %bb.249:
	v_cmp_gt_i16_sdwa s[8:9], v41, v2 src0_sel:BYTE_0 src1_sel:DWORD
	s_and_b64 vcc, exec, s[8:9]
	s_cbranch_vccz .LBB11_251
; %bb.250:
	v_mov_b32_e32 v2, 0
	v_mov_b32_e32 v3, v2
	s_mov_b64 s[6:7], 0
	global_store_dwordx4 v[4:5], v[0:3], off
.LBB11_251:
	s_andn2_b64 vcc, exec, s[6:7]
	s_cbranch_vccnz .LBB11_253
; %bb.252:
	v_cvt_f32_f64_e32 v2, v[0:1]
	v_mov_b32_e32 v3, 0
	global_store_dwordx2 v[4:5], v[2:3], off
.LBB11_253:
	s_mov_b64 s[6:7], 0
.LBB11_254:
	s_andn2_b64 vcc, exec, s[6:7]
	s_cbranch_vccnz .LBB11_256
; %bb.255:
	v_cvt_f32_f64_e32 v2, v[0:1]
	v_cvt_f16_f32_e32 v2, v2
	global_store_dword v[4:5], v2, off
.LBB11_256:
	s_mov_b64 s[6:7], 0
.LBB11_257:
	s_andn2_b64 vcc, exec, s[6:7]
	s_cbranch_vccnz .LBB11_266
; %bb.258:
	v_mov_b32_e32 v2, 6
	v_cmp_lt_i16_sdwa s[8:9], v41, v2 src0_sel:BYTE_0 src1_sel:DWORD
	s_mov_b64 s[6:7], -1
	s_and_b64 vcc, exec, s[8:9]
	s_cbranch_vccnz .LBB11_264
; %bb.259:
	v_cmp_gt_i16_sdwa s[8:9], v41, v2 src0_sel:BYTE_0 src1_sel:DWORD
	s_and_b64 vcc, exec, s[8:9]
	s_cbranch_vccz .LBB11_261
; %bb.260:
	s_mov_b64 s[6:7], 0
	global_store_dwordx2 v[4:5], v[0:1], off
.LBB11_261:
	s_andn2_b64 vcc, exec, s[6:7]
	s_cbranch_vccnz .LBB11_263
; %bb.262:
	v_cvt_f32_f64_e32 v2, v[0:1]
	global_store_dword v[4:5], v2, off
.LBB11_263:
	s_mov_b64 s[6:7], 0
.LBB11_264:
	s_andn2_b64 vcc, exec, s[6:7]
	s_cbranch_vccnz .LBB11_266
; %bb.265:
	v_cvt_f32_f64_e32 v2, v[0:1]
	v_cvt_f16_f32_e32 v2, v2
	global_store_short v[4:5], v2, off
.LBB11_266:
	s_mov_b64 s[6:7], 0
.LBB11_267:
	s_andn2_b64 vcc, exec, s[6:7]
	s_cbranch_vccnz .LBB11_283
; %bb.268:
	v_mov_b32_e32 v2, 2
	v_cmp_lt_i16_sdwa s[8:9], v41, v2 src0_sel:BYTE_0 src1_sel:DWORD
	s_mov_b64 s[6:7], -1
	s_and_b64 vcc, exec, s[8:9]
	s_cbranch_vccnz .LBB11_278
; %bb.269:
	v_mov_b32_e32 v2, 3
	v_cmp_lt_i16_sdwa s[8:9], v41, v2 src0_sel:BYTE_0 src1_sel:DWORD
	s_and_b64 vcc, exec, s[8:9]
	s_cbranch_vccnz .LBB11_275
; %bb.270:
	v_cmp_gt_i16_sdwa s[8:9], v41, v2 src0_sel:BYTE_0 src1_sel:DWORD
	s_and_b64 vcc, exec, s[8:9]
	s_cbranch_vccz .LBB11_272
; %bb.271:
	v_trunc_f64_e32 v[2:3], v[0:1]
	s_movk_i32 s6, 0xffe0
	v_ldexp_f64 v[6:7], v[2:3], s6
	v_floor_f64_e32 v[6:7], v[6:7]
	v_fmac_f64_e32 v[2:3], 0xc1f00000, v[6:7]
	v_cvt_i32_f64_e32 v9, v[6:7]
	v_cvt_u32_f64_e32 v8, v[2:3]
	s_mov_b64 s[6:7], 0
	global_store_dwordx2 v[4:5], v[8:9], off
.LBB11_272:
	s_andn2_b64 vcc, exec, s[6:7]
	s_cbranch_vccnz .LBB11_274
; %bb.273:
	v_cvt_i32_f64_e32 v2, v[0:1]
	global_store_dword v[4:5], v2, off
.LBB11_274:
	s_mov_b64 s[6:7], 0
.LBB11_275:
	s_andn2_b64 vcc, exec, s[6:7]
	s_cbranch_vccnz .LBB11_277
; %bb.276:
	v_cvt_i32_f64_e32 v2, v[0:1]
	global_store_short v[4:5], v2, off
.LBB11_277:
	s_mov_b64 s[6:7], 0
.LBB11_278:
	s_andn2_b64 vcc, exec, s[6:7]
	s_cbranch_vccnz .LBB11_283
; %bb.279:
	v_mov_b32_e32 v2, 0
	v_cmp_gt_i16_sdwa s[8:9], v41, v2 src0_sel:BYTE_0 src1_sel:DWORD
	s_mov_b64 s[6:7], -1
	s_and_b64 vcc, exec, s[8:9]
	s_cbranch_vccz .LBB11_281
; %bb.280:
	v_cvt_i32_f64_e32 v2, v[0:1]
	s_mov_b64 s[6:7], 0
	global_store_byte v[4:5], v2, off
.LBB11_281:
	s_andn2_b64 vcc, exec, s[6:7]
	s_cbranch_vccnz .LBB11_283
; %bb.282:
	v_trunc_f64_e32 v[0:1], v[0:1]
	s_movk_i32 s6, 0xffe0
	v_ldexp_f64 v[2:3], v[0:1], s6
	v_floor_f64_e32 v[2:3], v[2:3]
	v_fmac_f64_e32 v[0:1], 0xc1f00000, v[2:3]
	v_cvt_u32_f64_e32 v0, v[0:1]
	global_store_byte v[4:5], v0, off
.LBB11_283:
	s_branch .LBB11_168
.LBB11_284:
	s_mov_b64 s[6:7], 0
                                        ; implicit-def: $vgpr40
.LBB11_285:
	s_andn2_b64 s[8:9], s[68:69], exec
	s_and_b64 s[4:5], s[4:5], exec
	s_or_b64 s[72:73], s[8:9], s[4:5]
	s_orn2_b64 s[8:9], s[6:7], exec
.LBB11_286:
	s_or_b64 exec, exec, s[74:75]
	s_mov_b64 s[4:5], 0
	s_mov_b64 s[6:7], 0
                                        ; implicit-def: $vgpr6
                                        ; implicit-def: $vgpr4_vgpr5
                                        ; implicit-def: $vgpr0_vgpr1
	s_and_saveexec_b64 s[74:75], s[8:9]
	s_cbranch_execz .LBB11_529
; %bb.287:
	v_cmp_gt_i32_e32 vcc, s80, v40
	s_mov_b64 s[6:7], -1
	s_mov_b64 s[78:79], s[72:73]
	s_and_saveexec_b64 s[76:77], vcc
	s_cbranch_execz .LBB11_432
; %bb.288:
	s_andn2_b64 vcc, exec, s[56:57]
	s_cbranch_vccnz .LBB11_294
; %bb.289:
	s_mov_b32 s24, 0
	s_andn2_b64 vcc, exec, s[66:67]
	v_mov_b32_e32 v2, 0
	v_mov_b32_e32 v38, 0
	s_cbranch_vccnz .LBB11_300
; %bb.290:
	s_add_i32 s30, s83, 1
	s_cmp_eq_u32 s82, 2
	s_cbranch_scc1 .LBB11_295
; %bb.291:
	s_and_b32 s24, s30, 28
	s_mov_b32 s25, 0
	v_mov_b32_e32 v38, 0
	s_mov_b64 s[26:27], s[52:53]
	s_mov_b64 s[28:29], s[64:65]
	v_mov_b32_e32 v0, v40
	v_mov_b32_e32 v2, 0
.LBB11_292:                             ; =>This Inner Loop Header: Depth=1
	s_load_dwordx8 s[12:19], s[26:27], 0x4
	s_load_dwordx4 s[20:23], s[26:27], 0x24
	s_load_dwordx8 s[4:11], s[28:29], 0x0
	s_add_u32 s26, s26, 48
	s_addc_u32 s27, s27, 0
	s_waitcnt lgkmcnt(0)
	v_mul_hi_u32 v1, s13, v0
	v_add_u32_e32 v1, v0, v1
	v_lshrrev_b32_e32 v1, s14, v1
	v_mul_lo_u32 v3, v1, s12
	v_mul_hi_u32 v4, s16, v1
	v_sub_u32_e32 v0, v0, v3
	v_add_u32_e32 v3, v1, v4
	v_lshrrev_b32_e32 v3, s17, v3
	v_mul_lo_u32 v5, v3, s15
	v_mul_hi_u32 v6, s19, v3
	v_sub_u32_e32 v1, v1, v5
	v_add_u32_e32 v5, v3, v6
	v_mul_lo_u32 v4, v0, s5
	v_mul_lo_u32 v0, v0, s4
	;; [unrolled: 1-line block ×4, first 2 shown]
	v_lshrrev_b32_e32 v5, s20, v5
	v_add3_u32 v1, v0, v38, v1
	v_add3_u32 v2, v4, v2, v6
	v_mul_lo_u32 v0, v5, s18
	v_mul_hi_u32 v4, s22, v5
	v_sub_u32_e32 v0, v3, v0
	v_add_u32_e32 v3, v5, v4
	v_mul_lo_u32 v4, v0, s8
	v_mul_lo_u32 v6, v0, s9
	v_lshrrev_b32_e32 v0, s23, v3
	s_add_i32 s25, s25, 4
	v_mul_lo_u32 v3, v0, s21
	s_add_u32 s28, s28, 32
	v_sub_u32_e32 v3, v5, v3
	s_addc_u32 s29, s29, 0
	v_mul_lo_u32 v5, v3, s10
	v_mul_lo_u32 v3, v3, s11
	s_cmp_eq_u32 s24, s25
	v_add3_u32 v2, v6, v2, v3
	v_add3_u32 v38, v4, v1, v5
	s_cbranch_scc0 .LBB11_292
; %bb.293:
	v_mov_b32_e32 v39, v2
	s_branch .LBB11_296
.LBB11_294:
	s_mov_b64 s[4:5], -1
                                        ; implicit-def: $vgpr2
                                        ; implicit-def: $vgpr38
	s_branch .LBB11_301
.LBB11_295:
	s_mov_b32 s25, s24
	v_pk_mov_b32 v[38:39], s[24:25], s[24:25] op_sel:[0,1]
                                        ; implicit-def: $vgpr2
	v_mov_b32_e32 v0, v40
.LBB11_296:
	s_and_b32 s8, s30, 3
	s_cmp_eq_u32 s8, 0
	s_cbranch_scc1 .LBB11_300
; %bb.297:
	s_lshl_b32 s4, s24, 3
	s_add_u32 s4, s4, s52
	s_addc_u32 s5, s53, 0
	s_add_u32 s4, s4, 0xc4
	s_addc_u32 s5, s5, 0
	s_mul_i32 s6, s24, 12
	s_add_u32 s6, s52, s6
	s_addc_u32 s7, s53, 0
.LBB11_298:                             ; =>This Inner Loop Header: Depth=1
	s_load_dwordx2 s[10:11], s[6:7], 0x4
	s_load_dword s9, s[6:7], 0xc
	s_load_dwordx2 s[12:13], s[4:5], 0x0
	s_add_u32 s6, s6, 12
	s_addc_u32 s7, s7, 0
	s_waitcnt lgkmcnt(0)
	v_mul_hi_u32 v1, s11, v0
	v_add_u32_e32 v1, v0, v1
	v_lshrrev_b32_e32 v1, s9, v1
	v_mul_lo_u32 v3, v1, s10
	v_mov_b32_e32 v2, v39
	s_add_u32 s4, s4, 8
	v_sub_u32_e32 v4, v0, v3
	s_addc_u32 s5, s5, 0
	s_add_i32 s8, s8, -1
	v_mad_u64_u32 v[2:3], s[10:11], v4, s13, v[2:3]
	v_mad_u64_u32 v[38:39], s[10:11], v4, s12, v[38:39]
	s_cmp_lg_u32 s8, 0
	v_mov_b32_e32 v0, v1
	v_mov_b32_e32 v39, v2
	s_cbranch_scc1 .LBB11_298
; %bb.299:
	v_mov_b32_e32 v2, v39
.LBB11_300:
	s_mov_b64 s[4:5], 0
.LBB11_301:
	s_andn2_b64 vcc, exec, s[4:5]
	s_cbranch_vccnz .LBB11_304
; %bb.302:
	s_waitcnt lgkmcnt(0)
	v_mul_hi_u32 v0, s49, v40
	v_add_u32_e32 v0, v40, v0
	v_lshrrev_b32_e32 v0, s50, v0
	v_mul_lo_u32 v1, v0, s48
	v_sub_u32_e32 v1, v40, v1
	v_mul_lo_u32 v2, v1, s45
	s_andn2_b64 vcc, exec, s[62:63]
	v_mul_lo_u32 v38, v1, s44
	s_cbranch_vccnz .LBB11_304
; %bb.303:
	v_mul_hi_u32 v1, s60, v0
	v_add_u32_e32 v1, v0, v1
	v_lshrrev_b32_e32 v1, s61, v1
	v_mul_lo_u32 v1, v1, s51
	v_sub_u32_e32 v0, v0, v1
	v_mad_u64_u32 v[38:39], s[4:5], v0, s46, v[38:39]
	v_mad_u64_u32 v[2:3], s[4:5], v0, s47, v[2:3]
.LBB11_304:
	s_waitcnt lgkmcnt(0)
	v_mov_b32_e32 v0, s42
	v_mov_b32_e32 v1, s43
	;; [unrolled: 1-line block ×3, first 2 shown]
	s_getpc_b64 s[4:5]
	s_add_u32 s4, s4, _ZN2at6native6invokeIZZZNS0_12_GLOBAL__N_119airy_ai_kernel_cudaERNS_18TensorIteratorBaseEENKUlvE_clEvENKUlvE_clEvEUldE_j15function_traitsIS7_EEENT1_11result_typeERKT_PrKPcPKT0_PKN3c1010ScalarTypeEi@rel32@lo+4
	s_addc_u32 s5, s5, _ZN2at6native6invokeIZZZNS0_12_GLOBAL__N_119airy_ai_kernel_cudaERNS_18TensorIteratorBaseEENKUlvE_clEvENKUlvE_clEvEUldE_j15function_traitsIS7_EEENT1_11result_typeERKT_PrKPcPKT0_PKN3c1010ScalarTypeEi@rel32@hi+12
	s_swappc_b64 s[30:31], s[4:5]
	v_mov_b32_e32 v2, s41
	v_add_co_u32_e32 v4, vcc, s40, v38
	v_addc_co_u32_e32 v5, vcc, 0, v2, vcc
	v_mov_b32_e32 v2, 11
	v_cmp_lt_i16_sdwa s[4:5], v41, v2 src0_sel:BYTE_0 src1_sel:DWORD
	s_and_b64 vcc, exec, s[4:5]
	s_cbranch_vccnz .LBB11_311
; %bb.305:
	v_mov_b32_e32 v2, 25
	v_cmp_gt_i16_sdwa s[4:5], v41, v2 src0_sel:BYTE_0 src1_sel:DWORD
	s_and_b64 vcc, exec, s[4:5]
	s_cbranch_vccz .LBB11_312
; %bb.306:
	v_mov_b32_e32 v2, 28
	v_cmp_gt_i16_sdwa s[4:5], v41, v2 src0_sel:BYTE_0 src1_sel:DWORD
	s_and_b64 vcc, exec, s[4:5]
	s_cbranch_vccz .LBB11_313
	;; [unrolled: 5-line block ×4, first 2 shown]
; %bb.309:
	v_mov_b32_e32 v2, 46
	v_cmp_eq_u16_sdwa s[6:7], v41, v2 src0_sel:BYTE_0 src1_sel:DWORD
	s_mov_b64 s[8:9], 0
	s_mov_b64 s[4:5], -1
	s_and_b64 vcc, exec, s[6:7]
	s_mov_b64 s[6:7], 0
	s_cbranch_vccz .LBB11_320
; %bb.310:
	v_cvt_f32_f64_e32 v2, v[0:1]
	v_bfe_u32 v3, v2, 16, 1
	s_movk_i32 s4, 0x7fff
	v_add3_u32 v3, v2, v3, s4
	v_lshrrev_b32_e32 v3, 16, v3
	v_mov_b32_e32 v6, 0x7fc0
	v_cmp_o_f32_e32 vcc, v2, v2
	v_cndmask_b32_e32 v2, v6, v3, vcc
	global_store_dword v[4:5], v2, off
	s_mov_b64 s[6:7], -1
	s_mov_b64 s[4:5], 0
	s_branch .LBB11_320
.LBB11_311:
	s_mov_b64 s[8:9], -1
	s_mov_b64 s[6:7], 0
	s_mov_b64 s[4:5], s[72:73]
	s_branch .LBB11_389
.LBB11_312:
	s_mov_b64 s[8:9], -1
	s_mov_b64 s[6:7], 0
	s_mov_b64 s[4:5], s[72:73]
	s_branch .LBB11_347
.LBB11_313:
	s_mov_b64 s[8:9], -1
	s_mov_b64 s[6:7], 0
	s_mov_b64 s[4:5], s[72:73]
	s_branch .LBB11_330
.LBB11_314:
	s_or_saveexec_b64 s[10:11], s[10:11]
                                        ; implicit-def: $sgpr12
	s_xor_b64 exec, exec, s[10:11]
	s_cbranch_execz .LBB11_198
.LBB11_315:
	s_mov_b32 s12, 0x46000000
	v_add_f32_e64 v3, |v2|, s12
	v_and_b32_e32 v3, 0xff, v3
	v_cmp_ne_u32_e32 vcc, 0, v3
	s_andn2_b64 s[8:9], s[8:9], exec
	s_and_b64 s[14:15], vcc, exec
	s_mov_b32 s12, 0
	s_or_b64 s[8:9], s[8:9], s[14:15]
	s_or_b64 exec, exec, s[10:11]
	v_mov_b32_e32 v6, s12
	s_and_saveexec_b64 s[10:11], s[8:9]
	s_cbranch_execnz .LBB11_199
	s_branch .LBB11_200
.LBB11_316:
	s_mov_b64 s[8:9], -1
	s_mov_b64 s[6:7], 0
	s_mov_b64 s[4:5], s[72:73]
	s_branch .LBB11_326
.LBB11_317:
	s_or_saveexec_b64 s[10:11], s[10:11]
                                        ; implicit-def: $sgpr12
	s_xor_b64 exec, exec, s[10:11]
	s_cbranch_execz .LBB11_211
.LBB11_318:
	s_mov_b32 s12, 0x42800000
	v_add_f32_e64 v3, |v2|, s12
	v_and_b32_e32 v3, 0xff, v3
	v_cmp_ne_u32_e32 vcc, 0, v3
	s_andn2_b64 s[8:9], s[8:9], exec
	s_and_b64 s[14:15], vcc, exec
	s_mov_b32 s12, 0
	s_or_b64 s[8:9], s[8:9], s[14:15]
	s_or_b64 exec, exec, s[10:11]
	v_mov_b32_e32 v6, s12
	s_and_saveexec_b64 s[10:11], s[8:9]
	s_cbranch_execnz .LBB11_212
	s_branch .LBB11_213
.LBB11_319:
	s_mov_b64 s[8:9], -1
	s_mov_b64 s[6:7], 0
	s_mov_b64 s[4:5], s[72:73]
.LBB11_320:
	s_and_b64 vcc, exec, s[8:9]
	s_cbranch_vccz .LBB11_325
; %bb.321:
	v_mov_b32_e32 v2, 44
	v_cmp_eq_u16_sdwa s[8:9], v41, v2 src0_sel:BYTE_0 src1_sel:DWORD
	s_mov_b64 s[4:5], -1
	s_and_b64 vcc, exec, s[8:9]
	s_cbranch_vccz .LBB11_325
; %bb.322:
	v_cvt_f32_f64_e32 v2, v[0:1]
	v_bfe_u32 v3, v2, 23, 8
	s_movk_i32 s4, 0xff
	v_cmp_ne_u32_e32 vcc, s4, v3
	v_mov_b32_e32 v6, 0xff
	s_and_saveexec_b64 s[6:7], vcc
; %bb.323:
	s_mov_b32 s4, 0x3fffff
	v_lshrrev_b32_e32 v6, 23, v2
	v_and_b32_e32 v7, 0x400000, v2
	v_and_or_b32 v2, v2, s4, v3
	v_cmp_ne_u32_e32 vcc, 0, v7
	v_cmp_ne_u32_e64 s[4:5], 0, v2
	s_and_b64 s[4:5], vcc, s[4:5]
	v_cndmask_b32_e64 v2, 0, 1, s[4:5]
	v_add_u32_e32 v6, v6, v2
; %bb.324:
	s_or_b64 exec, exec, s[6:7]
	s_mov_b64 s[6:7], -1
	s_mov_b64 s[4:5], 0
	global_store_byte v[4:5], v6, off
.LBB11_325:
	s_mov_b64 s[8:9], 0
.LBB11_326:
	s_and_b64 vcc, exec, s[8:9]
	s_cbranch_vccz .LBB11_329
; %bb.327:
	v_mov_b32_e32 v2, 29
	v_cmp_eq_u16_sdwa s[8:9], v41, v2 src0_sel:BYTE_0 src1_sel:DWORD
	s_mov_b64 s[4:5], -1
	s_and_b64 vcc, exec, s[8:9]
	s_cbranch_vccz .LBB11_329
; %bb.328:
	v_trunc_f64_e32 v[2:3], v[0:1]
	s_movk_i32 s4, 0xffe0
	v_ldexp_f64 v[6:7], v[2:3], s4
	v_floor_f64_e32 v[6:7], v[6:7]
	v_fmac_f64_e32 v[2:3], 0xc1f00000, v[6:7]
	v_cvt_u32_f64_e32 v9, v[6:7]
	v_cvt_u32_f64_e32 v8, v[2:3]
	global_store_dwordx2 v[4:5], v[8:9], off
	s_mov_b64 s[6:7], -1
	s_mov_b64 s[4:5], 0
.LBB11_329:
	s_mov_b64 s[8:9], 0
.LBB11_330:
	s_and_b64 vcc, exec, s[8:9]
	s_cbranch_vccz .LBB11_346
; %bb.331:
	v_mov_b32_e32 v2, 27
	v_cmp_lt_i16_sdwa s[8:9], v41, v2 src0_sel:BYTE_0 src1_sel:DWORD
	s_mov_b64 s[6:7], -1
	s_and_b64 vcc, exec, s[8:9]
	s_cbranch_vccnz .LBB11_337
; %bb.332:
	v_cmp_gt_i16_sdwa s[8:9], v41, v2 src0_sel:BYTE_0 src1_sel:DWORD
	s_and_b64 vcc, exec, s[8:9]
	v_cvt_u32_f64_e32 v2, v[0:1]
	s_cbranch_vccz .LBB11_334
; %bb.333:
	s_mov_b64 s[6:7], 0
	global_store_dword v[4:5], v2, off
.LBB11_334:
	s_andn2_b64 vcc, exec, s[6:7]
	s_cbranch_vccnz .LBB11_336
; %bb.335:
	global_store_short v[4:5], v2, off
.LBB11_336:
	s_mov_b64 s[6:7], 0
.LBB11_337:
	s_andn2_b64 vcc, exec, s[6:7]
	s_cbranch_vccnz .LBB11_345
; %bb.338:
	v_cvt_f32_f64_e32 v2, v[0:1]
	v_and_b32_e32 v3, 0x7fffffff, v2
	s_mov_b32 s6, 0x43800000
	v_cmp_gt_u32_e32 vcc, s6, v3
	v_mov_b32_e32 v6, 0x80
	s_and_saveexec_b64 s[6:7], vcc
	s_cbranch_execz .LBB11_344
; %bb.339:
	s_mov_b32 s8, 0x3bffffff
	v_cmp_lt_u32_e32 vcc, s8, v3
	s_mov_b64 s[8:9], 0
                                        ; implicit-def: $vgpr3
	s_and_saveexec_b64 s[10:11], vcc
	s_xor_b64 s[10:11], exec, s[10:11]
	s_cbranch_execz .LBB11_1123
; %bb.340:
	v_bfe_u32 v3, v2, 20, 1
	s_mov_b32 s12, 0x487ffff
	v_add3_u32 v3, v2, v3, s12
	s_mov_b64 s[8:9], exec
	v_lshrrev_b32_e32 v3, 20, v3
	s_or_saveexec_b64 s[10:11], s[10:11]
                                        ; implicit-def: $sgpr12
	s_xor_b64 exec, exec, s[10:11]
	s_cbranch_execnz .LBB11_1124
.LBB11_341:
	s_or_b64 exec, exec, s[10:11]
	v_mov_b32_e32 v6, s12
	s_and_saveexec_b64 s[10:11], s[8:9]
.LBB11_342:
	v_lshrrev_b32_e32 v2, 24, v2
	s_movk_i32 s8, 0x80
	v_and_or_b32 v6, v2, s8, v3
.LBB11_343:
	s_or_b64 exec, exec, s[10:11]
.LBB11_344:
	s_or_b64 exec, exec, s[6:7]
	global_store_byte v[4:5], v6, off
.LBB11_345:
	s_mov_b64 s[6:7], -1
.LBB11_346:
	s_mov_b64 s[8:9], 0
.LBB11_347:
	s_and_b64 vcc, exec, s[8:9]
	s_cbranch_vccz .LBB11_388
; %bb.348:
	v_mov_b32_e32 v2, 22
	v_cmp_gt_i16_sdwa s[10:11], v41, v2 src0_sel:BYTE_0 src1_sel:DWORD
	s_mov_b64 s[8:9], -1
	s_and_b64 vcc, exec, s[10:11]
	s_cbranch_vccz .LBB11_380
; %bb.349:
	v_mov_b32_e32 v2, 24
	v_cmp_lt_i16_sdwa s[8:9], v41, v2 src0_sel:BYTE_0 src1_sel:DWORD
	s_mov_b64 s[6:7], -1
	s_and_b64 vcc, exec, s[8:9]
	s_cbranch_vccnz .LBB11_369
; %bb.350:
	v_cmp_gt_i16_sdwa s[8:9], v41, v2 src0_sel:BYTE_0 src1_sel:DWORD
	s_and_b64 vcc, exec, s[8:9]
	s_cbranch_vccz .LBB11_358
; %bb.351:
	v_cvt_f32_f64_e32 v2, v[0:1]
	v_and_b32_e32 v3, 0x7fffffff, v2
	s_mov_b32 s6, 0x47800000
	v_cmp_gt_u32_e32 vcc, s6, v3
	v_mov_b32_e32 v6, 0x80
	s_and_saveexec_b64 s[6:7], vcc
	s_cbranch_execz .LBB11_357
; %bb.352:
	s_mov_b32 s8, 0x37ffffff
	v_cmp_lt_u32_e32 vcc, s8, v3
	s_mov_b64 s[8:9], 0
                                        ; implicit-def: $vgpr3
	s_and_saveexec_b64 s[10:11], vcc
	s_xor_b64 s[10:11], exec, s[10:11]
	s_cbranch_execz .LBB11_1130
; %bb.353:
	v_bfe_u32 v3, v2, 21, 1
	s_mov_b32 s12, 0x88fffff
	v_add3_u32 v3, v2, v3, s12
	s_mov_b64 s[8:9], exec
	v_lshrrev_b32_e32 v3, 21, v3
	s_or_saveexec_b64 s[10:11], s[10:11]
                                        ; implicit-def: $sgpr12
	s_xor_b64 exec, exec, s[10:11]
	s_cbranch_execnz .LBB11_1131
.LBB11_354:
	s_or_b64 exec, exec, s[10:11]
	v_mov_b32_e32 v6, s12
	s_and_saveexec_b64 s[10:11], s[8:9]
.LBB11_355:
	v_lshrrev_b32_e32 v2, 24, v2
	s_movk_i32 s8, 0x80
	v_and_or_b32 v6, v2, s8, v3
.LBB11_356:
	s_or_b64 exec, exec, s[10:11]
.LBB11_357:
	s_or_b64 exec, exec, s[6:7]
	s_mov_b64 s[6:7], 0
	global_store_byte v[4:5], v6, off
.LBB11_358:
	s_and_b64 vcc, exec, s[6:7]
	s_cbranch_vccz .LBB11_368
; %bb.359:
	v_cvt_f32_f64_e32 v2, v[0:1]
	v_and_b32_e32 v6, 0x7fffffff, v2
	s_mov_b32 s6, 0x43f00000
	v_cmp_gt_u32_e32 vcc, s6, v6
                                        ; implicit-def: $vgpr3
	s_and_saveexec_b64 s[6:7], vcc
	s_xor_b64 s[6:7], exec, s[6:7]
	s_cbranch_execz .LBB11_365
; %bb.360:
	s_mov_b32 s8, 0x3c7fffff
	v_cmp_lt_u32_e32 vcc, s8, v6
                                        ; implicit-def: $vgpr3
	s_and_saveexec_b64 s[8:9], vcc
	s_xor_b64 s[8:9], exec, s[8:9]
; %bb.361:
	v_bfe_u32 v3, v2, 20, 1
	s_mov_b32 s10, 0x407ffff
	v_add3_u32 v3, v2, v3, s10
	v_lshrrev_b32_e32 v6, 20, v3
	v_and_b32_e32 v3, 0xff00000, v3
	s_mov_b32 s10, 0x7f00000
	v_mov_b32_e32 v7, 0x7e
	v_cmp_ne_u32_e32 vcc, s10, v3
	v_cndmask_b32_e32 v3, v7, v6, vcc
; %bb.362:
	s_andn2_saveexec_b64 s[8:9], s[8:9]
; %bb.363:
	s_mov_b32 s10, 0x46800000
	v_add_f32_e64 v3, |v2|, s10
; %bb.364:
	s_or_b64 exec, exec, s[8:9]
                                        ; implicit-def: $vgpr6
.LBB11_365:
	s_andn2_saveexec_b64 s[6:7], s[6:7]
; %bb.366:
	s_mov_b32 s8, 0x7f800000
	v_mov_b32_e32 v3, 0x7e
	v_mov_b32_e32 v7, 0x7f
	v_cmp_lt_u32_e32 vcc, s8, v6
	v_cndmask_b32_e32 v3, v3, v7, vcc
; %bb.367:
	s_or_b64 exec, exec, s[6:7]
	v_lshrrev_b32_e32 v2, 24, v2
	s_movk_i32 s6, 0x80
	v_and_or_b32 v2, v2, s6, v3
	global_store_byte v[4:5], v2, off
.LBB11_368:
	s_mov_b64 s[6:7], 0
.LBB11_369:
	s_andn2_b64 vcc, exec, s[6:7]
	s_cbranch_vccnz .LBB11_379
; %bb.370:
	v_cvt_f32_f64_e32 v2, v[0:1]
	v_and_b32_e32 v6, 0x7fffffff, v2
	s_mov_b32 s6, 0x47800000
	v_cmp_gt_u32_e32 vcc, s6, v6
                                        ; implicit-def: $vgpr3
	s_and_saveexec_b64 s[6:7], vcc
	s_xor_b64 s[6:7], exec, s[6:7]
	s_cbranch_execz .LBB11_376
; %bb.371:
	s_mov_b32 s8, 0x387fffff
	v_cmp_lt_u32_e32 vcc, s8, v6
                                        ; implicit-def: $vgpr3
	s_and_saveexec_b64 s[8:9], vcc
	s_xor_b64 s[8:9], exec, s[8:9]
; %bb.372:
	v_bfe_u32 v3, v2, 21, 1
	s_mov_b32 s10, 0x80fffff
	v_add3_u32 v3, v2, v3, s10
	v_lshrrev_b32_e32 v3, 21, v3
; %bb.373:
	s_andn2_saveexec_b64 s[8:9], s[8:9]
; %bb.374:
	s_mov_b32 s10, 0x43000000
	v_add_f32_e64 v3, |v2|, s10
; %bb.375:
	s_or_b64 exec, exec, s[8:9]
                                        ; implicit-def: $vgpr6
.LBB11_376:
	s_andn2_saveexec_b64 s[6:7], s[6:7]
; %bb.377:
	s_mov_b32 s8, 0x7f800000
	v_mov_b32_e32 v3, 0x7c
	v_mov_b32_e32 v7, 0x7f
	v_cmp_lt_u32_e32 vcc, s8, v6
	v_cndmask_b32_e32 v3, v3, v7, vcc
; %bb.378:
	s_or_b64 exec, exec, s[6:7]
	v_lshrrev_b32_e32 v2, 24, v2
	s_movk_i32 s6, 0x80
	v_and_or_b32 v2, v2, s6, v3
	global_store_byte v[4:5], v2, off
.LBB11_379:
	s_mov_b64 s[8:9], 0
	s_mov_b64 s[6:7], -1
.LBB11_380:
	s_andn2_b64 vcc, exec, s[8:9]
	s_cbranch_vccnz .LBB11_388
; %bb.381:
	v_mov_b32_e32 v2, 14
	v_cmp_gt_i16_sdwa s[10:11], v41, v2 src0_sel:BYTE_0 src1_sel:DWORD
	s_mov_b64 s[8:9], -1
	s_and_b64 vcc, exec, s[10:11]
	s_cbranch_vccz .LBB11_385
; %bb.382:
	v_mov_b32_e32 v2, 15
	v_cmp_eq_u16_sdwa s[8:9], v41, v2 src0_sel:BYTE_0 src1_sel:DWORD
	s_mov_b64 s[4:5], -1
	s_and_b64 vcc, exec, s[8:9]
	s_cbranch_vccz .LBB11_384
; %bb.383:
	v_cvt_f32_f64_e32 v2, v[0:1]
	v_bfe_u32 v3, v2, 16, 1
	s_movk_i32 s4, 0x7fff
	v_add3_u32 v3, v2, v3, s4
	v_lshrrev_b32_e32 v3, 16, v3
	v_mov_b32_e32 v6, 0x7fc0
	v_cmp_o_f32_e32 vcc, v2, v2
	v_cndmask_b32_e32 v2, v6, v3, vcc
	global_store_short v[4:5], v2, off
	s_mov_b64 s[6:7], -1
	s_mov_b64 s[4:5], 0
.LBB11_384:
	s_mov_b64 s[8:9], 0
.LBB11_385:
	s_and_b64 vcc, exec, s[8:9]
	s_cbranch_vccz .LBB11_388
; %bb.386:
	v_mov_b32_e32 v2, 11
	v_cmp_eq_u16_sdwa s[8:9], v41, v2 src0_sel:BYTE_0 src1_sel:DWORD
	s_mov_b64 s[4:5], -1
	s_and_b64 vcc, exec, s[8:9]
	s_cbranch_vccz .LBB11_388
; %bb.387:
	v_cmp_neq_f64_e32 vcc, 0, v[0:1]
	s_mov_b64 s[4:5], 0
	v_cndmask_b32_e64 v2, 0, 1, vcc
	s_mov_b64 s[6:7], -1
	global_store_byte v[4:5], v2, off
.LBB11_388:
	s_mov_b64 s[8:9], 0
.LBB11_389:
	s_and_b64 vcc, exec, s[8:9]
	s_cbranch_vccz .LBB11_428
; %bb.390:
	v_mov_b32_e32 v2, 5
	v_cmp_lt_i16_sdwa s[8:9], v41, v2 src0_sel:BYTE_0 src1_sel:DWORD
	s_mov_b64 s[6:7], -1
	s_and_b64 vcc, exec, s[8:9]
	s_cbranch_vccnz .LBB11_411
; %bb.391:
	v_mov_b32_e32 v2, 8
	v_cmp_lt_i16_sdwa s[8:9], v41, v2 src0_sel:BYTE_0 src1_sel:DWORD
	s_and_b64 vcc, exec, s[8:9]
	s_cbranch_vccnz .LBB11_401
; %bb.392:
	v_mov_b32_e32 v2, 9
	v_cmp_lt_i16_sdwa s[8:9], v41, v2 src0_sel:BYTE_0 src1_sel:DWORD
	s_and_b64 vcc, exec, s[8:9]
	s_cbranch_vccnz .LBB11_398
; %bb.393:
	v_cmp_gt_i16_sdwa s[8:9], v41, v2 src0_sel:BYTE_0 src1_sel:DWORD
	s_and_b64 vcc, exec, s[8:9]
	s_cbranch_vccz .LBB11_395
; %bb.394:
	v_mov_b32_e32 v2, 0
	v_mov_b32_e32 v3, v2
	s_mov_b64 s[6:7], 0
	global_store_dwordx4 v[4:5], v[0:3], off
.LBB11_395:
	s_andn2_b64 vcc, exec, s[6:7]
	s_cbranch_vccnz .LBB11_397
; %bb.396:
	v_cvt_f32_f64_e32 v2, v[0:1]
	v_mov_b32_e32 v3, 0
	global_store_dwordx2 v[4:5], v[2:3], off
.LBB11_397:
	s_mov_b64 s[6:7], 0
.LBB11_398:
	s_andn2_b64 vcc, exec, s[6:7]
	s_cbranch_vccnz .LBB11_400
; %bb.399:
	v_cvt_f32_f64_e32 v2, v[0:1]
	v_cvt_f16_f32_e32 v2, v2
	global_store_dword v[4:5], v2, off
.LBB11_400:
	s_mov_b64 s[6:7], 0
.LBB11_401:
	s_andn2_b64 vcc, exec, s[6:7]
	s_cbranch_vccnz .LBB11_410
; %bb.402:
	v_mov_b32_e32 v2, 6
	v_cmp_lt_i16_sdwa s[8:9], v41, v2 src0_sel:BYTE_0 src1_sel:DWORD
	s_mov_b64 s[6:7], -1
	s_and_b64 vcc, exec, s[8:9]
	s_cbranch_vccnz .LBB11_408
; %bb.403:
	v_cmp_gt_i16_sdwa s[8:9], v41, v2 src0_sel:BYTE_0 src1_sel:DWORD
	s_and_b64 vcc, exec, s[8:9]
	s_cbranch_vccz .LBB11_405
; %bb.404:
	s_mov_b64 s[6:7], 0
	global_store_dwordx2 v[4:5], v[0:1], off
.LBB11_405:
	s_andn2_b64 vcc, exec, s[6:7]
	s_cbranch_vccnz .LBB11_407
; %bb.406:
	v_cvt_f32_f64_e32 v2, v[0:1]
	global_store_dword v[4:5], v2, off
.LBB11_407:
	s_mov_b64 s[6:7], 0
.LBB11_408:
	s_andn2_b64 vcc, exec, s[6:7]
	s_cbranch_vccnz .LBB11_410
; %bb.409:
	v_cvt_f32_f64_e32 v2, v[0:1]
	v_cvt_f16_f32_e32 v2, v2
	global_store_short v[4:5], v2, off
.LBB11_410:
	s_mov_b64 s[6:7], 0
.LBB11_411:
	s_andn2_b64 vcc, exec, s[6:7]
	s_cbranch_vccnz .LBB11_427
; %bb.412:
	v_mov_b32_e32 v2, 2
	v_cmp_lt_i16_sdwa s[8:9], v41, v2 src0_sel:BYTE_0 src1_sel:DWORD
	s_mov_b64 s[6:7], -1
	s_and_b64 vcc, exec, s[8:9]
	s_cbranch_vccnz .LBB11_422
; %bb.413:
	v_mov_b32_e32 v2, 3
	v_cmp_lt_i16_sdwa s[8:9], v41, v2 src0_sel:BYTE_0 src1_sel:DWORD
	s_and_b64 vcc, exec, s[8:9]
	s_cbranch_vccnz .LBB11_419
; %bb.414:
	v_cmp_gt_i16_sdwa s[8:9], v41, v2 src0_sel:BYTE_0 src1_sel:DWORD
	s_and_b64 vcc, exec, s[8:9]
	s_cbranch_vccz .LBB11_416
; %bb.415:
	v_trunc_f64_e32 v[2:3], v[0:1]
	s_movk_i32 s6, 0xffe0
	v_ldexp_f64 v[6:7], v[2:3], s6
	v_floor_f64_e32 v[6:7], v[6:7]
	v_fmac_f64_e32 v[2:3], 0xc1f00000, v[6:7]
	v_cvt_i32_f64_e32 v9, v[6:7]
	v_cvt_u32_f64_e32 v8, v[2:3]
	s_mov_b64 s[6:7], 0
	global_store_dwordx2 v[4:5], v[8:9], off
.LBB11_416:
	s_andn2_b64 vcc, exec, s[6:7]
	s_cbranch_vccnz .LBB11_418
; %bb.417:
	v_cvt_i32_f64_e32 v2, v[0:1]
	global_store_dword v[4:5], v2, off
.LBB11_418:
	s_mov_b64 s[6:7], 0
.LBB11_419:
	s_andn2_b64 vcc, exec, s[6:7]
	s_cbranch_vccnz .LBB11_421
; %bb.420:
	v_cvt_i32_f64_e32 v2, v[0:1]
	global_store_short v[4:5], v2, off
.LBB11_421:
	s_mov_b64 s[6:7], 0
.LBB11_422:
	s_andn2_b64 vcc, exec, s[6:7]
	s_cbranch_vccnz .LBB11_427
; %bb.423:
	v_mov_b32_e32 v2, 0
	v_cmp_gt_i16_sdwa s[8:9], v41, v2 src0_sel:BYTE_0 src1_sel:DWORD
	s_mov_b64 s[6:7], -1
	s_and_b64 vcc, exec, s[8:9]
	s_cbranch_vccz .LBB11_425
; %bb.424:
	v_cvt_i32_f64_e32 v2, v[0:1]
	s_mov_b64 s[6:7], 0
	global_store_byte v[4:5], v2, off
.LBB11_425:
	s_andn2_b64 vcc, exec, s[6:7]
	s_cbranch_vccnz .LBB11_427
; %bb.426:
	v_trunc_f64_e32 v[0:1], v[0:1]
	s_movk_i32 s6, 0xffe0
	v_ldexp_f64 v[2:3], v[0:1], s6
	v_floor_f64_e32 v[2:3], v[2:3]
	v_fmac_f64_e32 v[0:1], 0xc1f00000, v[2:3]
	v_cvt_u32_f64_e32 v0, v[0:1]
	global_store_byte v[4:5], v0, off
.LBB11_427:
	s_mov_b64 s[6:7], -1
.LBB11_428:
	s_andn2_b64 vcc, exec, s[6:7]
	s_cbranch_vccnz .LBB11_430
; %bb.429:
	v_add_u32_e32 v40, 0x80, v40
	s_mov_b64 s[6:7], -1
	s_branch .LBB11_431
.LBB11_430:
	s_mov_b64 s[6:7], 0
                                        ; implicit-def: $vgpr40
.LBB11_431:
	s_andn2_b64 s[8:9], s[72:73], exec
	s_and_b64 s[4:5], s[4:5], exec
	s_or_b64 s[78:79], s[8:9], s[4:5]
	s_orn2_b64 s[6:7], s[6:7], exec
.LBB11_432:
	s_or_b64 exec, exec, s[76:77]
	s_mov_b64 s[4:5], 0
	s_mov_b64 s[10:11], 0
                                        ; implicit-def: $vgpr6
                                        ; implicit-def: $vgpr4_vgpr5
                                        ; implicit-def: $vgpr0_vgpr1
	s_and_saveexec_b64 s[76:77], s[6:7]
	s_cbranch_execz .LBB11_528
; %bb.433:
	v_cmp_gt_i32_e32 vcc, s80, v40
	s_mov_b64 s[6:7], 0
	s_mov_b64 s[8:9], s[78:79]
                                        ; implicit-def: $vgpr6
                                        ; implicit-def: $vgpr4_vgpr5
                                        ; implicit-def: $vgpr0_vgpr1
	s_and_saveexec_b64 s[80:81], vcc
	s_cbranch_execz .LBB11_527
; %bb.434:
	s_andn2_b64 vcc, exec, s[56:57]
	s_cbranch_vccnz .LBB11_440
; %bb.435:
	s_mov_b32 s24, 0
	s_andn2_b64 vcc, exec, s[66:67]
	v_mov_b32_e32 v2, 0
	v_mov_b32_e32 v38, 0
	s_cbranch_vccnz .LBB11_446
; %bb.436:
	s_add_i32 s83, s83, 1
	s_cmp_eq_u32 s82, 2
	s_cbranch_scc1 .LBB11_441
; %bb.437:
	s_and_b32 s24, s83, 28
	s_mov_b32 s25, 0
	v_mov_b32_e32 v38, 0
	s_mov_b64 s[26:27], s[52:53]
	v_mov_b32_e32 v0, v40
	v_mov_b32_e32 v2, 0
.LBB11_438:                             ; =>This Inner Loop Header: Depth=1
	s_load_dwordx8 s[12:19], s[26:27], 0x4
	s_load_dwordx4 s[20:23], s[26:27], 0x24
	s_load_dwordx8 s[4:11], s[64:65], 0x0
	s_add_u32 s26, s26, 48
	s_addc_u32 s27, s27, 0
	s_waitcnt lgkmcnt(0)
	v_mul_hi_u32 v1, s13, v0
	v_add_u32_e32 v1, v0, v1
	v_lshrrev_b32_e32 v1, s14, v1
	v_mul_lo_u32 v3, v1, s12
	v_mul_hi_u32 v4, s16, v1
	v_sub_u32_e32 v0, v0, v3
	v_add_u32_e32 v3, v1, v4
	v_lshrrev_b32_e32 v3, s17, v3
	v_mul_lo_u32 v5, v3, s15
	v_mul_hi_u32 v6, s19, v3
	v_sub_u32_e32 v1, v1, v5
	v_add_u32_e32 v5, v3, v6
	v_mul_lo_u32 v4, v0, s5
	v_mul_lo_u32 v0, v0, s4
	;; [unrolled: 1-line block ×4, first 2 shown]
	v_lshrrev_b32_e32 v5, s20, v5
	v_add3_u32 v1, v0, v38, v1
	v_add3_u32 v2, v4, v2, v6
	v_mul_lo_u32 v0, v5, s18
	v_mul_hi_u32 v4, s22, v5
	v_sub_u32_e32 v0, v3, v0
	v_add_u32_e32 v3, v5, v4
	v_mul_lo_u32 v4, v0, s8
	v_mul_lo_u32 v6, v0, s9
	v_lshrrev_b32_e32 v0, s23, v3
	s_add_i32 s25, s25, 4
	v_mul_lo_u32 v3, v0, s21
	s_add_u32 s64, s64, 32
	v_sub_u32_e32 v3, v5, v3
	s_addc_u32 s65, s65, 0
	v_mul_lo_u32 v5, v3, s10
	v_mul_lo_u32 v3, v3, s11
	s_cmp_eq_u32 s24, s25
	v_add3_u32 v2, v6, v2, v3
	v_add3_u32 v38, v4, v1, v5
	s_cbranch_scc0 .LBB11_438
; %bb.439:
	v_mov_b32_e32 v39, v2
	s_branch .LBB11_442
.LBB11_440:
	s_mov_b64 s[4:5], -1
                                        ; implicit-def: $vgpr2
                                        ; implicit-def: $vgpr38
	s_branch .LBB11_447
.LBB11_441:
	s_mov_b32 s25, s24
	v_pk_mov_b32 v[38:39], s[24:25], s[24:25] op_sel:[0,1]
                                        ; implicit-def: $vgpr2
	v_mov_b32_e32 v0, v40
.LBB11_442:
	s_and_b32 s8, s83, 3
	s_cmp_eq_u32 s8, 0
	s_cbranch_scc1 .LBB11_446
; %bb.443:
	s_lshl_b32 s4, s24, 3
	s_add_u32 s4, s4, s52
	s_addc_u32 s5, s53, 0
	s_add_u32 s4, s4, 0xc4
	s_addc_u32 s5, s5, 0
	s_mul_i32 s6, s24, 12
	s_add_u32 s6, s52, s6
	s_addc_u32 s7, s53, 0
.LBB11_444:                             ; =>This Inner Loop Header: Depth=1
	s_load_dwordx2 s[10:11], s[6:7], 0x4
	s_load_dword s9, s[6:7], 0xc
	s_load_dwordx2 s[12:13], s[4:5], 0x0
	s_add_u32 s6, s6, 12
	s_addc_u32 s7, s7, 0
	s_waitcnt lgkmcnt(0)
	v_mul_hi_u32 v1, s11, v0
	v_add_u32_e32 v1, v0, v1
	v_lshrrev_b32_e32 v1, s9, v1
	v_mul_lo_u32 v3, v1, s10
	v_mov_b32_e32 v2, v39
	s_add_u32 s4, s4, 8
	v_sub_u32_e32 v4, v0, v3
	s_addc_u32 s5, s5, 0
	s_add_i32 s8, s8, -1
	v_mad_u64_u32 v[2:3], s[10:11], v4, s13, v[2:3]
	v_mad_u64_u32 v[38:39], s[10:11], v4, s12, v[38:39]
	s_cmp_lg_u32 s8, 0
	v_mov_b32_e32 v0, v1
	v_mov_b32_e32 v39, v2
	s_cbranch_scc1 .LBB11_444
; %bb.445:
	v_mov_b32_e32 v2, v39
.LBB11_446:
	s_mov_b64 s[4:5], 0
.LBB11_447:
	s_andn2_b64 vcc, exec, s[4:5]
	s_cbranch_vccnz .LBB11_450
; %bb.448:
	s_waitcnt lgkmcnt(0)
	v_mul_hi_u32 v0, s49, v40
	v_add_u32_e32 v0, v40, v0
	v_lshrrev_b32_e32 v0, s50, v0
	v_mul_lo_u32 v1, v0, s48
	v_sub_u32_e32 v1, v40, v1
	v_mul_lo_u32 v2, v1, s45
	s_andn2_b64 vcc, exec, s[62:63]
	v_mul_lo_u32 v38, v1, s44
	s_cbranch_vccnz .LBB11_450
; %bb.449:
	v_mul_hi_u32 v1, s60, v0
	v_add_u32_e32 v1, v0, v1
	v_lshrrev_b32_e32 v1, s61, v1
	v_mul_lo_u32 v1, v1, s51
	v_sub_u32_e32 v0, v0, v1
	v_mad_u64_u32 v[38:39], s[4:5], v0, s46, v[38:39]
	v_mad_u64_u32 v[2:3], s[4:5], v0, s47, v[2:3]
.LBB11_450:
	s_waitcnt lgkmcnt(0)
	v_mov_b32_e32 v0, s42
	v_mov_b32_e32 v1, s43
	;; [unrolled: 1-line block ×3, first 2 shown]
	s_getpc_b64 s[4:5]
	s_add_u32 s4, s4, _ZN2at6native6invokeIZZZNS0_12_GLOBAL__N_119airy_ai_kernel_cudaERNS_18TensorIteratorBaseEENKUlvE_clEvENKUlvE_clEvEUldE_j15function_traitsIS7_EEENT1_11result_typeERKT_PrKPcPKT0_PKN3c1010ScalarTypeEi@rel32@lo+4
	s_addc_u32 s5, s5, _ZN2at6native6invokeIZZZNS0_12_GLOBAL__N_119airy_ai_kernel_cudaERNS_18TensorIteratorBaseEENKUlvE_clEvENKUlvE_clEvEUldE_j15function_traitsIS7_EEENT1_11result_typeERKT_PrKPcPKT0_PKN3c1010ScalarTypeEi@rel32@hi+12
	s_swappc_b64 s[30:31], s[4:5]
	v_mov_b32_e32 v2, s41
	v_add_co_u32_e32 v4, vcc, s40, v38
	v_addc_co_u32_e32 v5, vcc, 0, v2, vcc
	v_and_b32_e32 v6, 0xff, v41
	v_cmp_gt_i16_e32 vcc, 11, v6
	s_cbranch_vccnz .LBB11_524
; %bb.451:
	v_cmp_lt_i16_e32 vcc, 25, v6
	s_mov_b64 s[8:9], -1
	s_mov_b64 s[4:5], s[78:79]
	s_cbranch_vccz .LBB11_484
; %bb.452:
	v_cmp_lt_i16_e32 vcc, 28, v6
	s_mov_b64 s[6:7], -1
	s_mov_b64 s[4:5], s[78:79]
	s_cbranch_vccz .LBB11_468
; %bb.453:
	v_cmp_lt_i16_e32 vcc, 43, v6
	s_mov_b64 s[4:5], s[78:79]
	s_cbranch_vccz .LBB11_464
; %bb.454:
	v_cmp_lt_i16_e32 vcc, 45, v6
	s_mov_b64 s[4:5], s[78:79]
	s_cbranch_vccz .LBB11_458
; %bb.455:
	v_cmp_eq_u16_e32 vcc, 46, v6
	s_mov_b64 s[4:5], -1
	s_cbranch_vccz .LBB11_457
; %bb.456:
	v_cvt_f32_f64_e32 v2, v[0:1]
	v_bfe_u32 v3, v2, 16, 1
	s_movk_i32 s4, 0x7fff
	v_add3_u32 v3, v2, v3, s4
	v_lshrrev_b32_e32 v3, 16, v3
	v_mov_b32_e32 v7, 0x7fc0
	v_cmp_o_f32_e32 vcc, v2, v2
	v_cndmask_b32_e32 v2, v7, v3, vcc
	global_store_dword v[4:5], v2, off
	s_mov_b64 s[4:5], 0
.LBB11_457:
	s_mov_b64 s[6:7], 0
.LBB11_458:
	s_and_b64 vcc, exec, s[6:7]
	s_cbranch_vccz .LBB11_463
; %bb.459:
	v_cmp_eq_u16_e32 vcc, 44, v6
	s_mov_b64 s[4:5], -1
	s_cbranch_vccz .LBB11_463
; %bb.460:
	v_cvt_f32_f64_e32 v2, v[0:1]
	v_bfe_u32 v3, v2, 23, 8
	s_movk_i32 s4, 0xff
	v_cmp_ne_u32_e32 vcc, s4, v3
	v_mov_b32_e32 v7, 0xff
	s_and_saveexec_b64 s[6:7], vcc
; %bb.461:
	s_mov_b32 s4, 0x3fffff
	v_lshrrev_b32_e32 v7, 23, v2
	v_and_b32_e32 v8, 0x400000, v2
	v_and_or_b32 v2, v2, s4, v3
	v_cmp_ne_u32_e32 vcc, 0, v8
	v_cmp_ne_u32_e64 s[4:5], 0, v2
	s_and_b64 s[4:5], vcc, s[4:5]
	v_cndmask_b32_e64 v2, 0, 1, s[4:5]
	v_add_u32_e32 v7, v7, v2
; %bb.462:
	s_or_b64 exec, exec, s[6:7]
	s_mov_b64 s[4:5], 0
	global_store_byte v[4:5], v7, off
.LBB11_463:
	s_mov_b64 s[6:7], 0
.LBB11_464:
	s_and_b64 vcc, exec, s[6:7]
	s_cbranch_vccz .LBB11_467
; %bb.465:
	v_cmp_eq_u16_e32 vcc, 29, v6
	s_mov_b64 s[4:5], -1
	s_cbranch_vccz .LBB11_467
; %bb.466:
	v_trunc_f64_e32 v[2:3], v[0:1]
	s_movk_i32 s4, 0xffe0
	v_ldexp_f64 v[8:9], v[2:3], s4
	v_floor_f64_e32 v[8:9], v[8:9]
	v_fmac_f64_e32 v[2:3], 0xc1f00000, v[8:9]
	v_cvt_u32_f64_e32 v11, v[8:9]
	v_cvt_u32_f64_e32 v10, v[2:3]
	global_store_dwordx2 v[4:5], v[10:11], off
	s_mov_b64 s[4:5], 0
.LBB11_467:
	s_mov_b64 s[6:7], 0
.LBB11_468:
	s_and_b64 vcc, exec, s[6:7]
	s_cbranch_vccz .LBB11_483
; %bb.469:
	v_cmp_gt_i16_e32 vcc, 27, v6
	s_mov_b64 s[6:7], -1
	s_cbranch_vccnz .LBB11_475
; %bb.470:
	v_cmp_lt_i16_e32 vcc, 27, v6
	v_cvt_u32_f64_e32 v2, v[0:1]
	s_cbranch_vccz .LBB11_472
; %bb.471:
	s_mov_b64 s[6:7], 0
	global_store_dword v[4:5], v2, off
.LBB11_472:
	s_andn2_b64 vcc, exec, s[6:7]
	s_cbranch_vccnz .LBB11_474
; %bb.473:
	global_store_short v[4:5], v2, off
.LBB11_474:
	s_mov_b64 s[6:7], 0
.LBB11_475:
	s_andn2_b64 vcc, exec, s[6:7]
	s_cbranch_vccnz .LBB11_483
; %bb.476:
	v_cvt_f32_f64_e32 v2, v[0:1]
	v_and_b32_e32 v3, 0x7fffffff, v2
	s_mov_b32 s6, 0x43800000
	v_cmp_gt_u32_e32 vcc, s6, v3
	v_mov_b32_e32 v7, 0x80
	s_and_saveexec_b64 s[6:7], vcc
	s_cbranch_execz .LBB11_482
; %bb.477:
	s_mov_b32 s8, 0x3bffffff
	v_cmp_lt_u32_e32 vcc, s8, v3
	s_mov_b64 s[8:9], 0
                                        ; implicit-def: $vgpr3
	s_and_saveexec_b64 s[10:11], vcc
	s_xor_b64 s[10:11], exec, s[10:11]
	s_cbranch_execz .LBB11_1132
; %bb.478:
	v_bfe_u32 v3, v2, 20, 1
	s_mov_b32 s12, 0x487ffff
	v_add3_u32 v3, v2, v3, s12
	s_mov_b64 s[8:9], exec
	v_lshrrev_b32_e32 v3, 20, v3
	s_or_saveexec_b64 s[10:11], s[10:11]
                                        ; implicit-def: $sgpr12
	s_xor_b64 exec, exec, s[10:11]
	s_cbranch_execnz .LBB11_1133
.LBB11_479:
	s_or_b64 exec, exec, s[10:11]
	v_mov_b32_e32 v7, s12
	s_and_saveexec_b64 s[10:11], s[8:9]
.LBB11_480:
	v_lshrrev_b32_e32 v2, 24, v2
	s_movk_i32 s8, 0x80
	v_and_or_b32 v7, v2, s8, v3
.LBB11_481:
	s_or_b64 exec, exec, s[10:11]
.LBB11_482:
	s_or_b64 exec, exec, s[6:7]
	global_store_byte v[4:5], v7, off
.LBB11_483:
	s_mov_b64 s[8:9], 0
.LBB11_484:
	s_mov_b64 s[6:7], 0
	s_and_b64 vcc, exec, s[8:9]
	s_cbranch_vccz .LBB11_525
; %bb.485:
	v_cmp_lt_i16_e32 vcc, 22, v6
	s_mov_b64 s[8:9], -1
	s_cbranch_vccz .LBB11_517
; %bb.486:
	v_cmp_gt_i16_e32 vcc, 24, v6
	s_cbranch_vccnz .LBB11_506
; %bb.487:
	v_cmp_lt_i16_e32 vcc, 24, v6
	s_cbranch_vccz .LBB11_495
; %bb.488:
	v_cvt_f32_f64_e32 v2, v[0:1]
	v_and_b32_e32 v3, 0x7fffffff, v2
	s_mov_b32 s8, 0x47800000
	v_cmp_gt_u32_e32 vcc, s8, v3
	v_mov_b32_e32 v7, 0x80
	s_and_saveexec_b64 s[8:9], vcc
	s_cbranch_execz .LBB11_494
; %bb.489:
	s_mov_b32 s10, 0x37ffffff
	v_cmp_lt_u32_e32 vcc, s10, v3
	s_mov_b64 s[10:11], 0
                                        ; implicit-def: $vgpr3
	s_and_saveexec_b64 s[12:13], vcc
	s_xor_b64 s[12:13], exec, s[12:13]
	s_cbranch_execz .LBB11_1136
; %bb.490:
	v_bfe_u32 v3, v2, 21, 1
	s_mov_b32 s14, 0x88fffff
	v_add3_u32 v3, v2, v3, s14
	s_mov_b64 s[10:11], exec
	v_lshrrev_b32_e32 v3, 21, v3
	s_or_saveexec_b64 s[12:13], s[12:13]
                                        ; implicit-def: $sgpr14
	s_xor_b64 exec, exec, s[12:13]
	s_cbranch_execnz .LBB11_1137
.LBB11_491:
	s_or_b64 exec, exec, s[12:13]
	v_mov_b32_e32 v7, s14
	s_and_saveexec_b64 s[12:13], s[10:11]
.LBB11_492:
	v_lshrrev_b32_e32 v2, 24, v2
	s_movk_i32 s10, 0x80
	v_and_or_b32 v7, v2, s10, v3
.LBB11_493:
	s_or_b64 exec, exec, s[12:13]
.LBB11_494:
	s_or_b64 exec, exec, s[8:9]
	s_mov_b64 s[8:9], 0
	global_store_byte v[4:5], v7, off
.LBB11_495:
	s_and_b64 vcc, exec, s[8:9]
	s_cbranch_vccz .LBB11_505
; %bb.496:
	v_cvt_f32_f64_e32 v2, v[0:1]
	v_and_b32_e32 v7, 0x7fffffff, v2
	s_mov_b32 s8, 0x43f00000
	v_cmp_gt_u32_e32 vcc, s8, v7
                                        ; implicit-def: $vgpr3
	s_and_saveexec_b64 s[8:9], vcc
	s_xor_b64 s[8:9], exec, s[8:9]
	s_cbranch_execz .LBB11_502
; %bb.497:
	s_mov_b32 s10, 0x3c7fffff
	v_cmp_lt_u32_e32 vcc, s10, v7
                                        ; implicit-def: $vgpr3
	s_and_saveexec_b64 s[10:11], vcc
	s_xor_b64 s[10:11], exec, s[10:11]
; %bb.498:
	v_bfe_u32 v3, v2, 20, 1
	s_mov_b32 s12, 0x407ffff
	v_add3_u32 v3, v2, v3, s12
	v_lshrrev_b32_e32 v7, 20, v3
	v_and_b32_e32 v3, 0xff00000, v3
	s_mov_b32 s12, 0x7f00000
	v_mov_b32_e32 v8, 0x7e
	v_cmp_ne_u32_e32 vcc, s12, v3
	v_cndmask_b32_e32 v3, v8, v7, vcc
; %bb.499:
	s_andn2_saveexec_b64 s[10:11], s[10:11]
; %bb.500:
	s_mov_b32 s12, 0x46800000
	v_add_f32_e64 v3, |v2|, s12
; %bb.501:
	s_or_b64 exec, exec, s[10:11]
                                        ; implicit-def: $vgpr7
.LBB11_502:
	s_andn2_saveexec_b64 s[8:9], s[8:9]
; %bb.503:
	s_mov_b32 s10, 0x7f800000
	v_mov_b32_e32 v3, 0x7e
	v_mov_b32_e32 v8, 0x7f
	v_cmp_lt_u32_e32 vcc, s10, v7
	v_cndmask_b32_e32 v3, v3, v8, vcc
; %bb.504:
	s_or_b64 exec, exec, s[8:9]
	v_lshrrev_b32_e32 v2, 24, v2
	s_movk_i32 s8, 0x80
	v_and_or_b32 v2, v2, s8, v3
	global_store_byte v[4:5], v2, off
.LBB11_505:
	s_mov_b64 s[8:9], 0
.LBB11_506:
	s_andn2_b64 vcc, exec, s[8:9]
	s_cbranch_vccnz .LBB11_516
; %bb.507:
	v_cvt_f32_f64_e32 v2, v[0:1]
	v_and_b32_e32 v7, 0x7fffffff, v2
	s_mov_b32 s8, 0x47800000
	v_cmp_gt_u32_e32 vcc, s8, v7
                                        ; implicit-def: $vgpr3
	s_and_saveexec_b64 s[8:9], vcc
	s_xor_b64 s[8:9], exec, s[8:9]
	s_cbranch_execz .LBB11_513
; %bb.508:
	s_mov_b32 s10, 0x387fffff
	v_cmp_lt_u32_e32 vcc, s10, v7
                                        ; implicit-def: $vgpr3
	s_and_saveexec_b64 s[10:11], vcc
	s_xor_b64 s[10:11], exec, s[10:11]
; %bb.509:
	v_bfe_u32 v3, v2, 21, 1
	s_mov_b32 s12, 0x80fffff
	v_add3_u32 v3, v2, v3, s12
	v_lshrrev_b32_e32 v3, 21, v3
; %bb.510:
	s_andn2_saveexec_b64 s[10:11], s[10:11]
; %bb.511:
	s_mov_b32 s12, 0x43000000
	v_add_f32_e64 v3, |v2|, s12
; %bb.512:
	s_or_b64 exec, exec, s[10:11]
                                        ; implicit-def: $vgpr7
.LBB11_513:
	s_andn2_saveexec_b64 s[8:9], s[8:9]
; %bb.514:
	s_mov_b32 s10, 0x7f800000
	v_mov_b32_e32 v3, 0x7c
	v_mov_b32_e32 v8, 0x7f
	v_cmp_lt_u32_e32 vcc, s10, v7
	v_cndmask_b32_e32 v3, v3, v8, vcc
; %bb.515:
	s_or_b64 exec, exec, s[8:9]
	v_lshrrev_b32_e32 v2, 24, v2
	s_movk_i32 s8, 0x80
	v_and_or_b32 v2, v2, s8, v3
	global_store_byte v[4:5], v2, off
.LBB11_516:
	s_mov_b64 s[8:9], 0
.LBB11_517:
	s_andn2_b64 vcc, exec, s[8:9]
	s_mov_b64 s[8:9], 0
	s_cbranch_vccnz .LBB11_526
; %bb.518:
	v_cmp_lt_i16_e32 vcc, 14, v6
	s_mov_b64 s[10:11], -1
	s_cbranch_vccz .LBB11_522
; %bb.519:
	v_cmp_eq_u16_e32 vcc, 15, v6
	s_mov_b64 s[4:5], -1
	s_cbranch_vccz .LBB11_521
; %bb.520:
	v_cvt_f32_f64_e32 v2, v[0:1]
	v_bfe_u32 v3, v2, 16, 1
	s_movk_i32 s4, 0x7fff
	v_add3_u32 v3, v2, v3, s4
	v_lshrrev_b32_e32 v3, 16, v3
	v_mov_b32_e32 v7, 0x7fc0
	v_cmp_o_f32_e32 vcc, v2, v2
	v_cndmask_b32_e32 v2, v7, v3, vcc
	global_store_short v[4:5], v2, off
	s_mov_b64 s[4:5], 0
.LBB11_521:
	s_mov_b64 s[10:11], 0
.LBB11_522:
	s_and_b64 vcc, exec, s[10:11]
	s_cbranch_vccz .LBB11_526
; %bb.523:
	v_cmp_ne_u16_e32 vcc, 11, v6
	s_andn2_b64 s[4:5], s[4:5], exec
	s_and_b64 s[10:11], vcc, exec
	s_mov_b64 s[8:9], -1
	s_or_b64 s[4:5], s[4:5], s[10:11]
	s_branch .LBB11_526
.LBB11_524:
	s_mov_b64 s[8:9], 0
	s_mov_b64 s[6:7], -1
	s_mov_b64 s[4:5], s[78:79]
	s_branch .LBB11_526
.LBB11_525:
	s_mov_b64 s[8:9], 0
.LBB11_526:
	s_and_b64 s[10:11], s[6:7], exec
	s_and_b64 s[6:7], s[8:9], exec
	s_andn2_b64 s[8:9], s[78:79], exec
	s_and_b64 s[4:5], s[4:5], exec
	s_or_b64 s[8:9], s[8:9], s[4:5]
.LBB11_527:
	s_or_b64 exec, exec, s[80:81]
	s_and_b64 s[4:5], s[6:7], exec
	s_andn2_b64 s[6:7], s[78:79], exec
	s_and_b64 s[8:9], s[8:9], exec
	s_and_b64 s[10:11], s[10:11], exec
	s_or_b64 s[78:79], s[6:7], s[8:9]
.LBB11_528:
	s_or_b64 exec, exec, s[76:77]
	s_and_b64 s[6:7], s[10:11], exec
	s_andn2_b64 s[8:9], s[72:73], exec
	s_and_b64 s[10:11], s[78:79], exec
	s_and_b64 s[4:5], s[4:5], exec
	s_or_b64 s[72:73], s[8:9], s[10:11]
.LBB11_529:
	s_or_b64 exec, exec, s[74:75]
	s_and_b64 s[74:75], s[4:5], exec
	s_andn2_b64 s[4:5], s[68:69], exec
	s_and_b64 s[8:9], s[72:73], exec
	s_and_b64 s[6:7], s[6:7], exec
	s_or_b64 s[68:69], s[4:5], s[8:9]
	s_or_b64 exec, exec, s[70:71]
	s_mov_b64 s[4:5], 0
	s_and_saveexec_b64 s[8:9], s[68:69]
	s_cbranch_execz .LBB11_148
.LBB11_530:
	s_mov_b64 s[4:5], exec
	s_andn2_b64 s[74:75], s[74:75], exec
	s_trap 2
	s_or_b64 exec, exec, s[8:9]
	s_and_saveexec_b64 s[8:9], s[74:75]
	s_xor_b64 s[8:9], exec, s[8:9]
	s_cbranch_execnz .LBB11_149
.LBB11_531:
	s_or_b64 exec, exec, s[8:9]
	s_and_saveexec_b64 s[8:9], s[6:7]
	s_xor_b64 s[6:7], exec, s[8:9]
	s_cbranch_execz .LBB11_569
.LBB11_532:
	v_cmp_gt_i16_e32 vcc, 5, v6
	s_mov_b64 s[8:9], -1
	s_cbranch_vccnz .LBB11_553
; %bb.533:
	v_cmp_gt_i16_e32 vcc, 8, v6
	s_cbranch_vccnz .LBB11_543
; %bb.534:
	v_cmp_gt_i16_e32 vcc, 9, v6
	s_cbranch_vccnz .LBB11_540
; %bb.535:
	v_cmp_lt_i16_e32 vcc, 9, v6
	s_cbranch_vccz .LBB11_537
; %bb.536:
	v_mov_b32_e32 v2, 0
	v_mov_b32_e32 v3, v2
	s_mov_b64 s[8:9], 0
	global_store_dwordx4 v[4:5], v[0:3], off
.LBB11_537:
	s_andn2_b64 vcc, exec, s[8:9]
	s_cbranch_vccnz .LBB11_539
; %bb.538:
	v_cvt_f32_f64_e32 v2, v[0:1]
	v_mov_b32_e32 v3, 0
	global_store_dwordx2 v[4:5], v[2:3], off
.LBB11_539:
	s_mov_b64 s[8:9], 0
.LBB11_540:
	s_andn2_b64 vcc, exec, s[8:9]
	s_cbranch_vccnz .LBB11_542
; %bb.541:
	v_cvt_f32_f64_e32 v2, v[0:1]
	v_cvt_f16_f32_e32 v2, v2
	global_store_dword v[4:5], v2, off
.LBB11_542:
	s_mov_b64 s[8:9], 0
.LBB11_543:
	s_andn2_b64 vcc, exec, s[8:9]
	s_cbranch_vccnz .LBB11_552
; %bb.544:
	v_cmp_gt_i16_e32 vcc, 6, v6
	s_mov_b64 s[8:9], -1
	s_cbranch_vccnz .LBB11_550
; %bb.545:
	v_cmp_lt_i16_e32 vcc, 6, v6
	s_cbranch_vccz .LBB11_547
; %bb.546:
	s_mov_b64 s[8:9], 0
	global_store_dwordx2 v[4:5], v[0:1], off
.LBB11_547:
	s_andn2_b64 vcc, exec, s[8:9]
	s_cbranch_vccnz .LBB11_549
; %bb.548:
	v_cvt_f32_f64_e32 v2, v[0:1]
	global_store_dword v[4:5], v2, off
.LBB11_549:
	s_mov_b64 s[8:9], 0
.LBB11_550:
	s_andn2_b64 vcc, exec, s[8:9]
	s_cbranch_vccnz .LBB11_552
; %bb.551:
	v_cvt_f32_f64_e32 v2, v[0:1]
	v_cvt_f16_f32_e32 v2, v2
	global_store_short v[4:5], v2, off
.LBB11_552:
	s_mov_b64 s[8:9], 0
.LBB11_553:
	s_andn2_b64 vcc, exec, s[8:9]
	s_cbranch_vccnz .LBB11_569
; %bb.554:
	v_cmp_gt_i16_e32 vcc, 2, v6
	s_mov_b64 s[8:9], -1
	s_cbranch_vccnz .LBB11_564
; %bb.555:
	v_cmp_gt_i16_e32 vcc, 3, v6
	s_cbranch_vccnz .LBB11_561
; %bb.556:
	v_cmp_lt_i16_e32 vcc, 3, v6
	s_cbranch_vccz .LBB11_558
; %bb.557:
	v_trunc_f64_e32 v[2:3], v[0:1]
	s_movk_i32 s8, 0xffe0
	v_ldexp_f64 v[8:9], v[2:3], s8
	v_floor_f64_e32 v[8:9], v[8:9]
	v_fmac_f64_e32 v[2:3], 0xc1f00000, v[8:9]
	v_cvt_i32_f64_e32 v11, v[8:9]
	v_cvt_u32_f64_e32 v10, v[2:3]
	s_mov_b64 s[8:9], 0
	global_store_dwordx2 v[4:5], v[10:11], off
.LBB11_558:
	s_andn2_b64 vcc, exec, s[8:9]
	s_cbranch_vccnz .LBB11_560
; %bb.559:
	v_cvt_i32_f64_e32 v2, v[0:1]
	global_store_dword v[4:5], v2, off
.LBB11_560:
	s_mov_b64 s[8:9], 0
.LBB11_561:
	s_andn2_b64 vcc, exec, s[8:9]
	s_cbranch_vccnz .LBB11_563
; %bb.562:
	v_cvt_i32_f64_e32 v2, v[0:1]
	global_store_short v[4:5], v2, off
.LBB11_563:
	s_mov_b64 s[8:9], 0
.LBB11_564:
	s_andn2_b64 vcc, exec, s[8:9]
	s_cbranch_vccnz .LBB11_569
; %bb.565:
	v_cmp_lt_i16_e32 vcc, 0, v6
	s_mov_b64 s[8:9], -1
	s_cbranch_vccz .LBB11_567
; %bb.566:
	v_cvt_i32_f64_e32 v2, v[0:1]
	s_mov_b64 s[8:9], 0
	global_store_byte v[4:5], v2, off
.LBB11_567:
	s_andn2_b64 vcc, exec, s[8:9]
	s_cbranch_vccnz .LBB11_569
; %bb.568:
	v_trunc_f64_e32 v[0:1], v[0:1]
	s_movk_i32 s8, 0xffe0
	v_ldexp_f64 v[2:3], v[0:1], s8
	v_floor_f64_e32 v[2:3], v[2:3]
	v_fmac_f64_e32 v[0:1], 0xc1f00000, v[2:3]
	v_cvt_u32_f64_e32 v0, v[0:1]
	global_store_byte v[4:5], v0, off
.LBB11_569:
	s_or_b64 exec, exec, s[6:7]
	s_waitcnt lgkmcnt(0)
	s_and_b64 s[44:45], s[4:5], exec
                                        ; implicit-def: $vgpr6
                                        ; implicit-def: $vgpr40
.LBB11_570:
	s_or_saveexec_b64 s[46:47], s[58:59]
	s_mov_b64 s[4:5], 0
                                        ; implicit-def: $vgpr7
                                        ; implicit-def: $vgpr4_vgpr5
                                        ; implicit-def: $vgpr0_vgpr1
	s_xor_b64 exec, exec, s[46:47]
	s_cbranch_execz .LBB11_1077
; %bb.571:
	v_cndmask_b32_e64 v0, 0, 1, s[56:57]
	v_cmp_ne_u32_e64 s[4:5], 1, v0
	s_andn2_b64 vcc, exec, s[56:57]
	s_cbranch_vccnz .LBB11_578
; %bb.572:
	s_mov_b32 s6, 0
	s_cmp_lg_u32 s33, 0
	v_mov_b32_e32 v2, 0
	v_mov_b32_e32 v54, 0
	s_cbranch_scc0 .LBB11_577
; %bb.573:
	s_min_u32 s34, s82, 15
	s_add_i32 s34, s34, 1
	s_cmp_eq_u32 s82, 2
	s_cbranch_scc1 .LBB11_579
; %bb.574:
	s_add_u32 s28, s52, 0xc4
	s_addc_u32 s29, s53, 0
	s_and_b32 s6, s34, 28
	s_mov_b32 s7, 0
	v_mov_b32_e32 v54, 0
	s_mov_b64 s[30:31], s[52:53]
	v_mov_b32_e32 v0, v40
	v_mov_b32_e32 v2, 0
.LBB11_575:                             ; =>This Inner Loop Header: Depth=1
	s_load_dwordx8 s[16:23], s[30:31], 0x4
	s_load_dwordx4 s[24:27], s[30:31], 0x24
	s_load_dwordx8 s[8:15], s[28:29], 0x0
	s_add_u32 s30, s30, 48
	s_addc_u32 s31, s31, 0
	s_waitcnt lgkmcnt(0)
	v_mul_hi_u32 v1, s17, v0
	v_add_u32_e32 v1, v0, v1
	v_lshrrev_b32_e32 v1, s18, v1
	v_mul_lo_u32 v3, v1, s16
	v_mul_hi_u32 v4, s20, v1
	v_sub_u32_e32 v0, v0, v3
	v_add_u32_e32 v3, v1, v4
	v_lshrrev_b32_e32 v3, s21, v3
	v_mul_lo_u32 v5, v3, s19
	v_mul_hi_u32 v7, s23, v3
	v_sub_u32_e32 v1, v1, v5
	v_add_u32_e32 v5, v3, v7
	v_mul_lo_u32 v4, v0, s9
	v_mul_lo_u32 v0, v0, s8
	;; [unrolled: 1-line block ×4, first 2 shown]
	v_lshrrev_b32_e32 v5, s24, v5
	v_add3_u32 v1, v0, v54, v1
	v_add3_u32 v2, v4, v2, v7
	v_mul_lo_u32 v0, v5, s22
	v_mul_hi_u32 v4, s26, v5
	v_sub_u32_e32 v0, v3, v0
	v_add_u32_e32 v3, v5, v4
	v_mul_lo_u32 v4, v0, s12
	v_mul_lo_u32 v7, v0, s13
	v_lshrrev_b32_e32 v0, s27, v3
	s_add_i32 s7, s7, 4
	v_mul_lo_u32 v3, v0, s25
	s_add_u32 s28, s28, 32
	v_sub_u32_e32 v3, v5, v3
	s_addc_u32 s29, s29, 0
	v_mul_lo_u32 v5, v3, s14
	v_mul_lo_u32 v3, v3, s15
	s_cmp_lg_u32 s6, s7
	v_add3_u32 v2, v7, v2, v3
	v_add3_u32 v54, v4, v1, v5
	s_cbranch_scc1 .LBB11_575
; %bb.576:
	v_mov_b32_e32 v55, v2
	s_and_b32 s10, s34, 3
	s_cmp_eq_u32 s10, 0
	s_cbranch_scc0 .LBB11_580
.LBB11_577:
	s_cbranch_execz .LBB11_583
	s_branch .LBB11_585
.LBB11_578:
                                        ; implicit-def: $vgpr2
                                        ; implicit-def: $vgpr54
	s_branch .LBB11_583
.LBB11_579:
	s_mov_b32 s7, s6
	v_pk_mov_b32 v[54:55], s[6:7], s[6:7] op_sel:[0,1]
                                        ; implicit-def: $vgpr2
	v_mov_b32_e32 v0, v40
	s_and_b32 s10, s34, 3
	s_cmp_eq_u32 s10, 0
	s_cbranch_scc1 .LBB11_577
.LBB11_580:
	s_lshl_b32 s7, s6, 3
	s_add_u32 s7, s7, s52
	s_addc_u32 s9, 0, s53
	s_add_u32 s8, s7, 0xc4
	s_addc_u32 s9, s9, 0
	s_mul_i32 s6, s6, 12
	s_add_u32 s6, s52, s6
	s_addc_u32 s7, 0, s53
.LBB11_581:                             ; =>This Inner Loop Header: Depth=1
	s_load_dwordx2 s[12:13], s[6:7], 0x4
	s_load_dword s11, s[6:7], 0xc
	s_load_dwordx2 s[14:15], s[8:9], 0x0
	s_add_u32 s6, s6, 12
	s_addc_u32 s7, s7, 0
	s_waitcnt lgkmcnt(0)
	v_mul_hi_u32 v1, s13, v0
	v_add_u32_e32 v1, v0, v1
	v_lshrrev_b32_e32 v1, s11, v1
	v_mul_lo_u32 v3, v1, s12
	v_mov_b32_e32 v2, v55
	s_add_u32 s8, s8, 8
	v_sub_u32_e32 v4, v0, v3
	s_addc_u32 s9, s9, 0
	s_add_i32 s10, s10, -1
	v_mad_u64_u32 v[2:3], s[12:13], v4, s15, v[2:3]
	v_mad_u64_u32 v[54:55], s[12:13], v4, s14, v[54:55]
	s_cmp_lg_u32 s10, 0
	v_mov_b32_e32 v0, v1
	v_mov_b32_e32 v55, v2
	s_cbranch_scc1 .LBB11_581
; %bb.582:
	v_mov_b32_e32 v2, v55
	s_cbranch_execnz .LBB11_585
.LBB11_583:
	s_load_dwordx4 s[8:11], s[52:53], 0x4
	s_load_dwordx2 s[6:7], s[52:53], 0xc4
	s_cmp_lt_u32 s33, 2
	s_waitcnt lgkmcnt(0)
	v_mul_hi_u32 v0, s9, v40
	v_add_u32_e32 v0, v40, v0
	v_lshrrev_b32_e32 v0, s10, v0
	v_mul_lo_u32 v1, v0, s8
	v_sub_u32_e32 v1, v40, v1
	v_mul_lo_u32 v2, v1, s7
	v_mul_lo_u32 v54, v1, s6
	s_cbranch_scc1 .LBB11_585
; %bb.584:
	s_load_dwordx4 s[8:11], s[52:53], 0x10
	s_load_dwordx2 s[6:7], s[52:53], 0xcc
	s_waitcnt lgkmcnt(0)
	v_mul_hi_u32 v1, s9, v0
	v_add_u32_e32 v1, v0, v1
	v_lshrrev_b32_e32 v1, s10, v1
	v_mul_lo_u32 v1, v1, s8
	v_sub_u32_e32 v0, v0, v1
	v_mad_u64_u32 v[54:55], s[8:9], v0, s6, v[54:55]
	v_mad_u64_u32 v[2:3], s[6:7], v0, s7, v[2:3]
.LBB11_585:
	s_and_b64 vcc, exec, s[4:5]
	v_add_u32_e32 v0, 0x80, v40
	s_cbranch_vccnz .LBB11_592
; %bb.586:
	s_mov_b32 s6, 0
	s_cmp_lg_u32 s33, 0
	v_mov_b32_e32 v38, 0
	v_mov_b32_e32 v52, 0
	s_cbranch_scc0 .LBB11_591
; %bb.587:
	s_min_u32 s34, s82, 15
	s_add_i32 s34, s34, 1
	s_cmp_eq_u32 s82, 2
	s_cbranch_scc1 .LBB11_593
; %bb.588:
	s_add_u32 s28, s52, 0xc4
	s_addc_u32 s29, s53, 0
	s_and_b32 s6, s34, 28
	s_mov_b32 s7, 0
	v_mov_b32_e32 v52, 0
	s_mov_b64 s[30:31], s[52:53]
	v_mov_b32_e32 v1, v0
	v_mov_b32_e32 v38, 0
.LBB11_589:                             ; =>This Inner Loop Header: Depth=1
	s_load_dwordx8 s[16:23], s[30:31], 0x4
	s_load_dwordx4 s[24:27], s[30:31], 0x24
	s_load_dwordx8 s[8:15], s[28:29], 0x0
	s_add_u32 s30, s30, 48
	s_addc_u32 s31, s31, 0
	s_waitcnt lgkmcnt(0)
	v_mul_hi_u32 v3, s17, v1
	v_add_u32_e32 v3, v1, v3
	v_lshrrev_b32_e32 v3, s18, v3
	v_mul_lo_u32 v4, v3, s16
	v_mul_hi_u32 v5, s20, v3
	v_sub_u32_e32 v1, v1, v4
	v_add_u32_e32 v4, v3, v5
	v_lshrrev_b32_e32 v4, s21, v4
	v_mul_lo_u32 v7, v4, s19
	v_mul_hi_u32 v8, s23, v4
	v_sub_u32_e32 v3, v3, v7
	v_add_u32_e32 v7, v4, v8
	v_mul_lo_u32 v5, v1, s9
	v_mul_lo_u32 v1, v1, s8
	;; [unrolled: 1-line block ×4, first 2 shown]
	v_lshrrev_b32_e32 v7, s24, v7
	v_add3_u32 v3, v1, v52, v3
	v_add3_u32 v5, v5, v38, v8
	v_mul_lo_u32 v1, v7, s22
	v_mul_hi_u32 v8, s26, v7
	v_sub_u32_e32 v1, v4, v1
	v_add_u32_e32 v4, v7, v8
	v_mul_lo_u32 v8, v1, s12
	v_mul_lo_u32 v9, v1, s13
	v_lshrrev_b32_e32 v1, s27, v4
	s_add_i32 s7, s7, 4
	v_mul_lo_u32 v4, v1, s25
	s_add_u32 s28, s28, 32
	v_sub_u32_e32 v4, v7, v4
	s_addc_u32 s29, s29, 0
	v_mul_lo_u32 v7, v4, s14
	v_mul_lo_u32 v4, v4, s15
	s_cmp_lg_u32 s6, s7
	v_add3_u32 v38, v9, v5, v4
	v_add3_u32 v52, v8, v3, v7
	s_cbranch_scc1 .LBB11_589
; %bb.590:
	v_mov_b32_e32 v53, v38
	s_and_b32 s10, s34, 3
	s_cmp_eq_u32 s10, 0
	s_cbranch_scc0 .LBB11_594
.LBB11_591:
	s_cbranch_execz .LBB11_597
	s_branch .LBB11_599
.LBB11_592:
                                        ; implicit-def: $vgpr38
                                        ; implicit-def: $vgpr52
	s_branch .LBB11_597
.LBB11_593:
	s_mov_b32 s7, s6
	v_pk_mov_b32 v[52:53], s[6:7], s[6:7] op_sel:[0,1]
                                        ; implicit-def: $vgpr38
	v_mov_b32_e32 v1, v0
	s_and_b32 s10, s34, 3
	s_cmp_eq_u32 s10, 0
	s_cbranch_scc1 .LBB11_591
.LBB11_594:
	s_lshl_b32 s7, s6, 3
	s_add_u32 s7, s7, s52
	s_addc_u32 s9, 0, s53
	s_add_u32 s8, s7, 0xc4
	s_addc_u32 s9, s9, 0
	s_mul_i32 s6, s6, 12
	s_add_u32 s6, s52, s6
	s_addc_u32 s7, 0, s53
.LBB11_595:                             ; =>This Inner Loop Header: Depth=1
	s_load_dwordx2 s[12:13], s[6:7], 0x4
	s_load_dword s11, s[6:7], 0xc
	s_load_dwordx2 s[14:15], s[8:9], 0x0
	s_add_u32 s6, s6, 12
	s_addc_u32 s7, s7, 0
	s_waitcnt lgkmcnt(0)
	v_mul_hi_u32 v3, s13, v1
	v_add_u32_e32 v3, v1, v3
	v_lshrrev_b32_e32 v3, s11, v3
	v_mul_lo_u32 v5, v3, s12
	v_mov_b32_e32 v4, v53
	s_add_u32 s8, s8, 8
	v_sub_u32_e32 v7, v1, v5
	s_addc_u32 s9, s9, 0
	s_add_i32 s10, s10, -1
	v_mad_u64_u32 v[4:5], s[12:13], v7, s15, v[4:5]
	v_mad_u64_u32 v[52:53], s[12:13], v7, s14, v[52:53]
	s_cmp_lg_u32 s10, 0
	v_mov_b32_e32 v1, v3
	v_mov_b32_e32 v53, v4
	s_cbranch_scc1 .LBB11_595
; %bb.596:
	v_mov_b32_e32 v38, v53
	s_cbranch_execnz .LBB11_599
.LBB11_597:
	s_load_dwordx4 s[8:11], s[52:53], 0x4
	s_load_dwordx2 s[6:7], s[52:53], 0xc4
	s_cmp_lt_u32 s33, 2
	s_waitcnt lgkmcnt(0)
	v_mul_hi_u32 v1, s9, v0
	v_add_u32_e32 v1, v0, v1
	v_lshrrev_b32_e32 v1, s10, v1
	v_mul_lo_u32 v3, v1, s8
	v_sub_u32_e32 v0, v0, v3
	v_mul_lo_u32 v38, v0, s7
	v_mul_lo_u32 v52, v0, s6
	s_cbranch_scc1 .LBB11_599
; %bb.598:
	s_load_dwordx4 s[8:11], s[52:53], 0x10
	s_load_dwordx2 s[6:7], s[52:53], 0xcc
	s_waitcnt lgkmcnt(0)
	v_mul_hi_u32 v0, s9, v1
	v_add_u32_e32 v0, v1, v0
	v_lshrrev_b32_e32 v0, s10, v0
	v_mul_lo_u32 v0, v0, s8
	v_sub_u32_e32 v0, v1, v0
	v_mad_u64_u32 v[52:53], s[8:9], v0, s6, v[52:53]
	v_mad_u64_u32 v[38:39], s[6:7], v0, s7, v[38:39]
.LBB11_599:
	s_and_b64 vcc, exec, s[4:5]
	v_add_u32_e32 v0, 0x100, v40
	s_cbranch_vccnz .LBB11_606
; %bb.600:
	s_mov_b32 s6, 0
	s_cmp_lg_u32 s33, 0
	v_mov_b32_e32 v44, 0
	v_mov_b32_e32 v50, 0
	s_cbranch_scc0 .LBB11_605
; %bb.601:
	s_min_u32 s34, s82, 15
	s_add_i32 s34, s34, 1
	s_cmp_eq_u32 s82, 2
	s_cbranch_scc1 .LBB11_607
; %bb.602:
	s_add_u32 s28, s52, 0xc4
	s_addc_u32 s29, s53, 0
	s_and_b32 s6, s34, 28
	s_mov_b32 s7, 0
	v_mov_b32_e32 v50, 0
	s_mov_b64 s[30:31], s[52:53]
	v_mov_b32_e32 v1, v0
	v_mov_b32_e32 v44, 0
.LBB11_603:                             ; =>This Inner Loop Header: Depth=1
	s_load_dwordx8 s[16:23], s[30:31], 0x4
	s_load_dwordx4 s[24:27], s[30:31], 0x24
	s_load_dwordx8 s[8:15], s[28:29], 0x0
	s_add_u32 s30, s30, 48
	s_addc_u32 s31, s31, 0
	s_waitcnt lgkmcnt(0)
	v_mul_hi_u32 v3, s17, v1
	v_add_u32_e32 v3, v1, v3
	v_lshrrev_b32_e32 v3, s18, v3
	v_mul_lo_u32 v4, v3, s16
	v_mul_hi_u32 v5, s20, v3
	v_sub_u32_e32 v1, v1, v4
	v_add_u32_e32 v4, v3, v5
	v_lshrrev_b32_e32 v4, s21, v4
	v_mul_lo_u32 v7, v4, s19
	v_mul_hi_u32 v8, s23, v4
	v_sub_u32_e32 v3, v3, v7
	v_add_u32_e32 v7, v4, v8
	v_mul_lo_u32 v5, v1, s9
	v_mul_lo_u32 v1, v1, s8
	;; [unrolled: 1-line block ×4, first 2 shown]
	v_lshrrev_b32_e32 v7, s24, v7
	v_add3_u32 v3, v1, v50, v3
	v_add3_u32 v5, v5, v44, v8
	v_mul_lo_u32 v1, v7, s22
	v_mul_hi_u32 v8, s26, v7
	v_sub_u32_e32 v1, v4, v1
	v_add_u32_e32 v4, v7, v8
	v_mul_lo_u32 v8, v1, s12
	v_mul_lo_u32 v9, v1, s13
	v_lshrrev_b32_e32 v1, s27, v4
	s_add_i32 s7, s7, 4
	v_mul_lo_u32 v4, v1, s25
	s_add_u32 s28, s28, 32
	v_sub_u32_e32 v4, v7, v4
	s_addc_u32 s29, s29, 0
	v_mul_lo_u32 v7, v4, s14
	v_mul_lo_u32 v4, v4, s15
	s_cmp_lg_u32 s6, s7
	v_add3_u32 v44, v9, v5, v4
	v_add3_u32 v50, v8, v3, v7
	s_cbranch_scc1 .LBB11_603
; %bb.604:
	v_mov_b32_e32 v51, v44
	s_and_b32 s10, s34, 3
	s_cmp_eq_u32 s10, 0
	s_cbranch_scc0 .LBB11_608
.LBB11_605:
	s_cbranch_execz .LBB11_611
	s_branch .LBB11_613
.LBB11_606:
                                        ; implicit-def: $vgpr44
                                        ; implicit-def: $vgpr50
	s_branch .LBB11_611
.LBB11_607:
	s_mov_b32 s7, s6
	v_pk_mov_b32 v[50:51], s[6:7], s[6:7] op_sel:[0,1]
                                        ; implicit-def: $vgpr44
	v_mov_b32_e32 v1, v0
	s_and_b32 s10, s34, 3
	s_cmp_eq_u32 s10, 0
	s_cbranch_scc1 .LBB11_605
.LBB11_608:
	s_lshl_b32 s7, s6, 3
	s_add_u32 s7, s7, s52
	s_addc_u32 s9, 0, s53
	s_add_u32 s8, s7, 0xc4
	s_addc_u32 s9, s9, 0
	s_mul_i32 s6, s6, 12
	s_add_u32 s6, s52, s6
	s_addc_u32 s7, 0, s53
.LBB11_609:                             ; =>This Inner Loop Header: Depth=1
	s_load_dwordx2 s[12:13], s[6:7], 0x4
	s_load_dword s11, s[6:7], 0xc
	s_load_dwordx2 s[14:15], s[8:9], 0x0
	s_add_u32 s6, s6, 12
	s_addc_u32 s7, s7, 0
	s_waitcnt lgkmcnt(0)
	v_mul_hi_u32 v3, s13, v1
	v_add_u32_e32 v3, v1, v3
	v_lshrrev_b32_e32 v3, s11, v3
	v_mul_lo_u32 v5, v3, s12
	v_mov_b32_e32 v4, v51
	s_add_u32 s8, s8, 8
	v_sub_u32_e32 v7, v1, v5
	s_addc_u32 s9, s9, 0
	s_add_i32 s10, s10, -1
	v_mad_u64_u32 v[4:5], s[12:13], v7, s15, v[4:5]
	v_mad_u64_u32 v[50:51], s[12:13], v7, s14, v[50:51]
	s_cmp_lg_u32 s10, 0
	v_mov_b32_e32 v1, v3
	v_mov_b32_e32 v51, v4
	s_cbranch_scc1 .LBB11_609
; %bb.610:
	v_mov_b32_e32 v44, v51
	s_cbranch_execnz .LBB11_613
.LBB11_611:
	s_load_dwordx4 s[8:11], s[52:53], 0x4
	s_load_dwordx2 s[6:7], s[52:53], 0xc4
	s_cmp_lt_u32 s33, 2
	s_waitcnt lgkmcnt(0)
	v_mul_hi_u32 v1, s9, v0
	v_add_u32_e32 v1, v0, v1
	v_lshrrev_b32_e32 v1, s10, v1
	v_mul_lo_u32 v3, v1, s8
	v_sub_u32_e32 v0, v0, v3
	v_mul_lo_u32 v44, v0, s7
	v_mul_lo_u32 v50, v0, s6
	s_cbranch_scc1 .LBB11_613
; %bb.612:
	s_load_dwordx4 s[8:11], s[52:53], 0x10
	s_load_dwordx2 s[6:7], s[52:53], 0xcc
	s_waitcnt lgkmcnt(0)
	v_mul_hi_u32 v0, s9, v1
	v_add_u32_e32 v0, v1, v0
	v_lshrrev_b32_e32 v0, s10, v0
	v_mul_lo_u32 v0, v0, s8
	v_sub_u32_e32 v0, v1, v0
	v_mad_u64_u32 v[50:51], s[8:9], v0, s6, v[50:51]
	v_mad_u64_u32 v[44:45], s[6:7], v0, s7, v[44:45]
.LBB11_613:
	s_and_b64 vcc, exec, s[4:5]
	s_cbranch_vccnz .LBB11_620
; %bb.614:
	s_mov_b32 s24, 0
	s_cmp_lg_u32 s33, 0
	v_mov_b32_e32 v46, 0
	v_mov_b32_e32 v48, 0
	s_cbranch_scc0 .LBB11_619
; %bb.615:
	s_min_u32 s30, s82, 15
	s_add_i32 s30, s30, 1
	s_cmp_eq_u32 s82, 2
	s_cbranch_scc1 .LBB11_621
; %bb.616:
	s_add_u32 s26, s52, 0xc4
	s_addc_u32 s27, s53, 0
	s_and_b32 s24, s30, 28
	s_mov_b32 s25, 0
	v_mov_b32_e32 v48, 0
	s_mov_b64 s[28:29], s[52:53]
	v_mov_b32_e32 v0, v6
	v_mov_b32_e32 v46, 0
.LBB11_617:                             ; =>This Inner Loop Header: Depth=1
	s_load_dwordx8 s[12:19], s[28:29], 0x4
	s_load_dwordx4 s[20:23], s[28:29], 0x24
	s_load_dwordx8 s[4:11], s[26:27], 0x0
	s_add_u32 s28, s28, 48
	s_addc_u32 s29, s29, 0
	s_waitcnt lgkmcnt(0)
	v_mul_hi_u32 v1, s13, v0
	v_add_u32_e32 v1, v0, v1
	v_lshrrev_b32_e32 v1, s14, v1
	v_mul_lo_u32 v3, v1, s12
	v_mul_hi_u32 v4, s16, v1
	v_sub_u32_e32 v0, v0, v3
	v_add_u32_e32 v3, v1, v4
	v_lshrrev_b32_e32 v3, s17, v3
	v_mul_lo_u32 v5, v3, s15
	v_mul_hi_u32 v7, s19, v3
	v_sub_u32_e32 v1, v1, v5
	v_add_u32_e32 v5, v3, v7
	v_mul_lo_u32 v4, v0, s5
	v_mul_lo_u32 v0, v0, s4
	;; [unrolled: 1-line block ×4, first 2 shown]
	v_lshrrev_b32_e32 v5, s20, v5
	v_add3_u32 v1, v0, v48, v1
	v_add3_u32 v4, v4, v46, v7
	v_mul_lo_u32 v0, v5, s18
	v_mul_hi_u32 v7, s22, v5
	v_sub_u32_e32 v0, v3, v0
	v_add_u32_e32 v3, v5, v7
	v_mul_lo_u32 v7, v0, s8
	v_mul_lo_u32 v8, v0, s9
	v_lshrrev_b32_e32 v0, s23, v3
	s_add_i32 s25, s25, 4
	v_mul_lo_u32 v3, v0, s21
	s_add_u32 s26, s26, 32
	v_sub_u32_e32 v3, v5, v3
	s_addc_u32 s27, s27, 0
	v_mul_lo_u32 v5, v3, s10
	v_mul_lo_u32 v3, v3, s11
	s_cmp_lg_u32 s24, s25
	v_add3_u32 v46, v8, v4, v3
	v_add3_u32 v48, v7, v1, v5
	s_cbranch_scc1 .LBB11_617
; %bb.618:
	v_mov_b32_e32 v49, v46
	s_and_b32 s8, s30, 3
	s_cmp_eq_u32 s8, 0
	s_cbranch_scc0 .LBB11_622
.LBB11_619:
	s_cbranch_execz .LBB11_625
	s_branch .LBB11_627
.LBB11_620:
                                        ; implicit-def: $vgpr46
                                        ; implicit-def: $vgpr48
	s_branch .LBB11_625
.LBB11_621:
	s_mov_b32 s25, s24
	v_pk_mov_b32 v[48:49], s[24:25], s[24:25] op_sel:[0,1]
                                        ; implicit-def: $vgpr46
	v_mov_b32_e32 v0, v6
	s_and_b32 s8, s30, 3
	s_cmp_eq_u32 s8, 0
	s_cbranch_scc1 .LBB11_619
.LBB11_622:
	s_lshl_b32 s4, s24, 3
	s_add_u32 s4, s4, s52
	s_addc_u32 s5, 0, s53
	s_add_u32 s4, s4, 0xc4
	s_addc_u32 s5, s5, 0
	s_mul_i32 s6, s24, 12
	s_add_u32 s6, s52, s6
	s_addc_u32 s7, 0, s53
.LBB11_623:                             ; =>This Inner Loop Header: Depth=1
	s_load_dwordx2 s[10:11], s[6:7], 0x4
	s_load_dword s9, s[6:7], 0xc
	s_load_dwordx2 s[12:13], s[4:5], 0x0
	s_add_u32 s6, s6, 12
	s_addc_u32 s7, s7, 0
	s_waitcnt lgkmcnt(0)
	v_mul_hi_u32 v1, s11, v0
	v_add_u32_e32 v1, v0, v1
	v_lshrrev_b32_e32 v1, s9, v1
	v_mul_lo_u32 v3, v1, s10
	v_mov_b32_e32 v4, v49
	s_add_u32 s4, s4, 8
	v_sub_u32_e32 v3, v0, v3
	s_addc_u32 s5, s5, 0
	s_add_i32 s8, s8, -1
	v_mad_u64_u32 v[4:5], s[10:11], v3, s13, v[4:5]
	v_mad_u64_u32 v[48:49], s[10:11], v3, s12, v[48:49]
	s_cmp_lg_u32 s8, 0
	v_mov_b32_e32 v0, v1
	v_mov_b32_e32 v49, v4
	s_cbranch_scc1 .LBB11_623
; %bb.624:
	v_mov_b32_e32 v46, v49
	s_cbranch_execnz .LBB11_627
.LBB11_625:
	s_load_dwordx4 s[4:7], s[52:53], 0x4
	s_load_dwordx2 s[8:9], s[52:53], 0xc4
	s_cmp_lt_u32 s33, 2
	s_waitcnt lgkmcnt(0)
	v_mul_hi_u32 v0, s5, v6
	v_add_u32_e32 v0, v6, v0
	v_lshrrev_b32_e32 v0, s6, v0
	v_mul_lo_u32 v1, v0, s4
	v_sub_u32_e32 v1, v6, v1
	v_mul_lo_u32 v46, v1, s9
	v_mul_lo_u32 v48, v1, s8
	s_cbranch_scc1 .LBB11_627
; %bb.626:
	s_load_dwordx4 s[4:7], s[52:53], 0x10
	s_load_dwordx2 s[8:9], s[52:53], 0xcc
	s_waitcnt lgkmcnt(0)
	v_mul_hi_u32 v1, s5, v0
	v_add_u32_e32 v1, v0, v1
	v_lshrrev_b32_e32 v1, s6, v1
	v_mul_lo_u32 v1, v1, s4
	v_sub_u32_e32 v0, v0, v1
	v_mad_u64_u32 v[48:49], s[4:5], v0, s8, v[48:49]
	v_mad_u64_u32 v[46:47], s[4:5], v0, s9, v[46:47]
.LBB11_627:
	s_load_dword s33, s[38:39], 0x160
	s_load_dwordx4 s[40:43], s[52:53], 0x148
	s_getpc_b64 s[38:39]
	s_add_u32 s38, s38, _ZN2at6native6invokeIZZZNS0_12_GLOBAL__N_119airy_ai_kernel_cudaERNS_18TensorIteratorBaseEENKUlvE_clEvENKUlvE_clEvEUldE_j15function_traitsIS7_EEENT1_11result_typeERKT_PrKPcPKT0_PKN3c1010ScalarTypeEi@rel32@lo+4
	s_addc_u32 s39, s39, _ZN2at6native6invokeIZZZNS0_12_GLOBAL__N_119airy_ai_kernel_cudaERNS_18TensorIteratorBaseEENKUlvE_clEvENKUlvE_clEvEUldE_j15function_traitsIS7_EEENT1_11result_typeERKT_PrKPcPKT0_PKN3c1010ScalarTypeEi@rel32@hi+12
	s_waitcnt lgkmcnt(0)
	s_lshr_b32 s48, s33, 16
	v_mov_b32_e32 v0, s42
	v_mov_b32_e32 v1, s43
	v_mov_b32_e32 v3, s48
	s_swappc_b64 s[30:31], s[38:39]
	v_mov_b32_e32 v42, v0
	v_mov_b32_e32 v43, v1
	v_mov_b32_e32 v0, s42
	v_mov_b32_e32 v1, s43
	v_mov_b32_e32 v2, v38
	v_mov_b32_e32 v3, s48
	s_swappc_b64 s[30:31], s[38:39]
	v_mov_b32_e32 v40, v0
	v_mov_b32_e32 v41, v1
	v_mov_b32_e32 v0, s42
	v_mov_b32_e32 v1, s43
	v_mov_b32_e32 v2, v44
	v_mov_b32_e32 v3, s48
	s_swappc_b64 s[30:31], s[38:39]
	v_mov_b32_e32 v38, v0
	v_mov_b32_e32 v39, v1
	v_mov_b32_e32 v0, s42
	v_mov_b32_e32 v1, s43
	v_mov_b32_e32 v2, v46
	v_mov_b32_e32 v3, s48
	s_swappc_b64 s[30:31], s[38:39]
	v_mov_b32_e32 v3, s41
	v_add_co_u32_e32 v2, vcc, s40, v54
	s_lshr_b32 s16, s33, 8
	v_mov_b32_e32 v4, 11
	v_addc_co_u32_e32 v3, vcc, 0, v3, vcc
	v_cmp_lt_i16_sdwa s[4:5], s16, v4 src0_sel:BYTE_0 src1_sel:DWORD
	s_and_b64 vcc, exec, s[4:5]
	s_cbranch_vccnz .LBB11_634
; %bb.628:
	v_mov_b32_e32 v4, 25
	v_cmp_gt_i16_sdwa s[4:5], s16, v4 src0_sel:BYTE_0 src1_sel:DWORD
	s_mov_b64 s[6:7], -1
	s_mov_b64 s[8:9], 0
	s_and_b64 vcc, exec, s[4:5]
	s_mov_b64 s[10:11], 0
	s_mov_b64 s[4:5], 0
	s_cbranch_vccz .LBB11_664
; %bb.629:
	v_mov_b32_e32 v4, 28
	v_cmp_gt_i16_sdwa s[4:5], s16, v4 src0_sel:BYTE_0 src1_sel:DWORD
	s_and_b64 vcc, exec, s[4:5]
	s_cbranch_vccz .LBB11_636
; %bb.630:
	v_mov_b32_e32 v4, 43
	v_cmp_gt_i16_sdwa s[4:5], s16, v4 src0_sel:BYTE_0 src1_sel:DWORD
	s_and_b64 vcc, exec, s[4:5]
	;; [unrolled: 5-line block ×3, first 2 shown]
	s_cbranch_vccz .LBB11_638
; %bb.632:
	v_mov_b32_e32 v4, 46
	v_cmp_eq_u16_sdwa s[10:11], s16, v4 src0_sel:BYTE_0 src1_sel:DWORD
	s_mov_b64 s[4:5], -1
	s_mov_b64 s[6:7], 0
	s_and_b64 vcc, exec, s[10:11]
	s_mov_b64 s[10:11], 0
	s_cbranch_vccz .LBB11_639
; %bb.633:
	v_cvt_f32_f64_e32 v4, v[42:43]
	v_bfe_u32 v5, v4, 16, 1
	s_movk_i32 s4, 0x7fff
	v_add3_u32 v5, v4, v5, s4
	v_lshrrev_b32_e32 v5, 16, v5
	v_mov_b32_e32 v6, 0x7fc0
	v_cmp_o_f32_e32 vcc, v4, v4
	v_cndmask_b32_e32 v4, v6, v5, vcc
	global_store_dword v[2:3], v4, off
	s_mov_b64 s[4:5], 0
	s_mov_b64 s[10:11], -1
	s_branch .LBB11_639
.LBB11_634:
	s_mov_b64 s[10:11], 0
	s_mov_b64 s[6:7], s[44:45]
	s_cbranch_execnz .LBB11_708
.LBB11_635:
	s_andn2_b64 vcc, exec, s[10:11]
	s_cbranch_vccz .LBB11_746
	s_branch .LBB11_1075
.LBB11_636:
	s_mov_b64 s[4:5], 0
	s_and_b64 vcc, exec, s[6:7]
	s_cbranch_vccz .LBB11_663
	s_branch .LBB11_648
.LBB11_637:
	s_mov_b64 s[4:5], 0
	s_and_b64 vcc, exec, s[6:7]
	s_cbranch_vccnz .LBB11_645
	s_branch .LBB11_647
.LBB11_638:
	s_mov_b64 s[4:5], 0
.LBB11_639:
	s_and_b64 vcc, exec, s[6:7]
	s_cbranch_vccz .LBB11_644
; %bb.640:
	v_mov_b32_e32 v4, 44
	v_cmp_eq_u16_sdwa s[6:7], s16, v4 src0_sel:BYTE_0 src1_sel:DWORD
	s_mov_b64 s[4:5], -1
	s_and_b64 vcc, exec, s[6:7]
	s_cbranch_vccz .LBB11_644
; %bb.641:
	v_cvt_f32_f64_e32 v4, v[42:43]
	v_bfe_u32 v5, v4, 23, 8
	s_movk_i32 s4, 0xff
	v_cmp_ne_u32_e32 vcc, s4, v5
	v_mov_b32_e32 v6, 0xff
	s_and_saveexec_b64 s[6:7], vcc
; %bb.642:
	s_mov_b32 s4, 0x3fffff
	v_lshrrev_b32_e32 v6, 23, v4
	v_and_b32_e32 v7, 0x400000, v4
	v_and_or_b32 v4, v4, s4, v5
	v_cmp_ne_u32_e32 vcc, 0, v7
	v_cmp_ne_u32_e64 s[4:5], 0, v4
	s_and_b64 s[4:5], vcc, s[4:5]
	v_cndmask_b32_e64 v4, 0, 1, s[4:5]
	v_add_u32_e32 v6, v6, v4
; %bb.643:
	s_or_b64 exec, exec, s[6:7]
	s_mov_b64 s[4:5], 0
	s_mov_b64 s[10:11], -1
	global_store_byte v[2:3], v6, off
.LBB11_644:
	s_branch .LBB11_647
.LBB11_645:
	v_mov_b32_e32 v4, 29
	v_cmp_eq_u16_sdwa s[6:7], s16, v4 src0_sel:BYTE_0 src1_sel:DWORD
	s_mov_b64 s[4:5], -1
	s_and_b64 vcc, exec, s[6:7]
	s_cbranch_vccz .LBB11_647
; %bb.646:
	v_trunc_f64_e32 v[4:5], v[42:43]
	s_movk_i32 s4, 0xffe0
	v_ldexp_f64 v[6:7], v[4:5], s4
	v_floor_f64_e32 v[6:7], v[6:7]
	v_fmac_f64_e32 v[4:5], 0xc1f00000, v[6:7]
	v_cvt_u32_f64_e32 v9, v[6:7]
	v_cvt_u32_f64_e32 v8, v[4:5]
	global_store_dwordx2 v[2:3], v[8:9], off
	s_mov_b64 s[4:5], 0
	s_mov_b64 s[10:11], -1
.LBB11_647:
	s_branch .LBB11_663
.LBB11_648:
	v_mov_b32_e32 v4, 27
	v_cmp_lt_i16_sdwa s[10:11], s16, v4 src0_sel:BYTE_0 src1_sel:DWORD
	s_mov_b64 s[6:7], -1
	s_and_b64 vcc, exec, s[10:11]
	s_cbranch_vccnz .LBB11_654
; %bb.649:
	v_cmp_gt_i16_sdwa s[10:11], s16, v4 src0_sel:BYTE_0 src1_sel:DWORD
	s_and_b64 vcc, exec, s[10:11]
	s_cbranch_vccz .LBB11_651
; %bb.650:
	v_cvt_u32_f64_e32 v4, v[42:43]
	s_mov_b64 s[6:7], 0
	global_store_dword v[2:3], v4, off
.LBB11_651:
	s_andn2_b64 vcc, exec, s[6:7]
	s_cbranch_vccnz .LBB11_653
; %bb.652:
	v_cvt_u32_f64_e32 v4, v[42:43]
	global_store_short v[2:3], v4, off
.LBB11_653:
	s_mov_b64 s[6:7], 0
.LBB11_654:
	s_andn2_b64 vcc, exec, s[6:7]
	s_cbranch_vccnz .LBB11_662
; %bb.655:
	v_cvt_f32_f64_e32 v4, v[42:43]
	v_and_b32_e32 v5, 0x7fffffff, v4
	s_mov_b32 s6, 0x43800000
	v_cmp_gt_u32_e32 vcc, s6, v5
	v_mov_b32_e32 v6, 0x80
	s_and_saveexec_b64 s[6:7], vcc
	s_cbranch_execz .LBB11_661
; %bb.656:
	s_mov_b32 s10, 0x3bffffff
	v_cmp_lt_u32_e32 vcc, s10, v5
	s_mov_b64 s[10:11], 0
                                        ; implicit-def: $vgpr5
	s_and_saveexec_b64 s[12:13], vcc
	s_xor_b64 s[12:13], exec, s[12:13]
	s_cbranch_execz .LBB11_756
; %bb.657:
	v_bfe_u32 v5, v4, 20, 1
	s_mov_b32 s14, 0x487ffff
	v_add3_u32 v5, v4, v5, s14
	s_mov_b64 s[10:11], exec
	v_lshrrev_b32_e32 v5, 20, v5
	s_or_saveexec_b64 s[12:13], s[12:13]
                                        ; implicit-def: $sgpr14
	s_xor_b64 exec, exec, s[12:13]
	s_cbranch_execnz .LBB11_757
.LBB11_658:
	s_or_b64 exec, exec, s[12:13]
	v_mov_b32_e32 v6, s14
	s_and_saveexec_b64 s[12:13], s[10:11]
.LBB11_659:
	v_lshrrev_b32_e32 v4, 24, v4
	s_movk_i32 s10, 0x80
	v_and_or_b32 v6, v4, s10, v5
.LBB11_660:
	s_or_b64 exec, exec, s[12:13]
.LBB11_661:
	s_or_b64 exec, exec, s[6:7]
	global_store_byte v[2:3], v6, off
.LBB11_662:
	s_mov_b64 s[10:11], -1
.LBB11_663:
	s_mov_b64 s[6:7], 0
.LBB11_664:
	s_and_b64 vcc, exec, s[6:7]
	s_cbranch_vccz .LBB11_704
; %bb.665:
	v_mov_b32_e32 v4, 22
	v_cmp_gt_i16_sdwa s[8:9], s16, v4 src0_sel:BYTE_0 src1_sel:DWORD
	s_mov_b64 s[6:7], -1
	s_and_b64 vcc, exec, s[8:9]
	s_cbranch_vccz .LBB11_697
; %bb.666:
	v_mov_b32_e32 v4, 24
	v_cmp_lt_i16_sdwa s[8:9], s16, v4 src0_sel:BYTE_0 src1_sel:DWORD
	s_and_b64 vcc, exec, s[8:9]
	s_cbranch_vccnz .LBB11_686
; %bb.667:
	v_cmp_gt_i16_sdwa s[8:9], s16, v4 src0_sel:BYTE_0 src1_sel:DWORD
	s_and_b64 vcc, exec, s[8:9]
	s_cbranch_vccz .LBB11_675
; %bb.668:
	v_cvt_f32_f64_e32 v4, v[42:43]
	v_and_b32_e32 v5, 0x7fffffff, v4
	s_mov_b32 s6, 0x47800000
	v_cmp_gt_u32_e32 vcc, s6, v5
	v_mov_b32_e32 v6, 0x80
	s_and_saveexec_b64 s[6:7], vcc
	s_cbranch_execz .LBB11_674
; %bb.669:
	s_mov_b32 s8, 0x37ffffff
	v_cmp_lt_u32_e32 vcc, s8, v5
	s_mov_b64 s[8:9], 0
                                        ; implicit-def: $vgpr5
	s_and_saveexec_b64 s[10:11], vcc
	s_xor_b64 s[10:11], exec, s[10:11]
	s_cbranch_execz .LBB11_760
; %bb.670:
	v_bfe_u32 v5, v4, 21, 1
	s_mov_b32 s12, 0x88fffff
	v_add3_u32 v5, v4, v5, s12
	s_mov_b64 s[8:9], exec
	v_lshrrev_b32_e32 v5, 21, v5
	s_or_saveexec_b64 s[10:11], s[10:11]
                                        ; implicit-def: $sgpr12
	s_xor_b64 exec, exec, s[10:11]
	s_cbranch_execnz .LBB11_761
.LBB11_671:
	s_or_b64 exec, exec, s[10:11]
	v_mov_b32_e32 v6, s12
	s_and_saveexec_b64 s[10:11], s[8:9]
.LBB11_672:
	v_lshrrev_b32_e32 v4, 24, v4
	s_movk_i32 s8, 0x80
	v_and_or_b32 v6, v4, s8, v5
.LBB11_673:
	s_or_b64 exec, exec, s[10:11]
.LBB11_674:
	s_or_b64 exec, exec, s[6:7]
	s_mov_b64 s[6:7], 0
	global_store_byte v[2:3], v6, off
.LBB11_675:
	s_and_b64 vcc, exec, s[6:7]
	s_cbranch_vccz .LBB11_685
; %bb.676:
	v_cvt_f32_f64_e32 v4, v[42:43]
	v_and_b32_e32 v6, 0x7fffffff, v4
	s_mov_b32 s6, 0x43f00000
	v_cmp_gt_u32_e32 vcc, s6, v6
                                        ; implicit-def: $vgpr5
	s_and_saveexec_b64 s[6:7], vcc
	s_xor_b64 s[6:7], exec, s[6:7]
	s_cbranch_execz .LBB11_682
; %bb.677:
	s_mov_b32 s8, 0x3c7fffff
	v_cmp_lt_u32_e32 vcc, s8, v6
                                        ; implicit-def: $vgpr5
	s_and_saveexec_b64 s[8:9], vcc
	s_xor_b64 s[8:9], exec, s[8:9]
; %bb.678:
	v_bfe_u32 v5, v4, 20, 1
	s_mov_b32 s10, 0x407ffff
	v_add3_u32 v5, v4, v5, s10
	v_lshrrev_b32_e32 v6, 20, v5
	v_and_b32_e32 v5, 0xff00000, v5
	s_mov_b32 s10, 0x7f00000
	v_mov_b32_e32 v7, 0x7e
	v_cmp_ne_u32_e32 vcc, s10, v5
	v_cndmask_b32_e32 v5, v7, v6, vcc
; %bb.679:
	s_andn2_saveexec_b64 s[8:9], s[8:9]
; %bb.680:
	s_mov_b32 s10, 0x46800000
	v_add_f32_e64 v5, |v4|, s10
; %bb.681:
	s_or_b64 exec, exec, s[8:9]
                                        ; implicit-def: $vgpr6
.LBB11_682:
	s_andn2_saveexec_b64 s[6:7], s[6:7]
; %bb.683:
	s_mov_b32 s8, 0x7f800000
	v_mov_b32_e32 v5, 0x7e
	v_mov_b32_e32 v7, 0x7f
	v_cmp_lt_u32_e32 vcc, s8, v6
	v_cndmask_b32_e32 v5, v5, v7, vcc
; %bb.684:
	s_or_b64 exec, exec, s[6:7]
	v_lshrrev_b32_e32 v4, 24, v4
	s_movk_i32 s6, 0x80
	v_and_or_b32 v4, v4, s6, v5
	global_store_byte v[2:3], v4, off
.LBB11_685:
	s_mov_b64 s[6:7], 0
.LBB11_686:
	s_andn2_b64 vcc, exec, s[6:7]
	s_cbranch_vccnz .LBB11_696
; %bb.687:
	v_cvt_f32_f64_e32 v4, v[42:43]
	v_and_b32_e32 v6, 0x7fffffff, v4
	s_mov_b32 s6, 0x47800000
	v_cmp_gt_u32_e32 vcc, s6, v6
                                        ; implicit-def: $vgpr5
	s_and_saveexec_b64 s[6:7], vcc
	s_xor_b64 s[6:7], exec, s[6:7]
	s_cbranch_execz .LBB11_693
; %bb.688:
	s_mov_b32 s8, 0x387fffff
	v_cmp_lt_u32_e32 vcc, s8, v6
                                        ; implicit-def: $vgpr5
	s_and_saveexec_b64 s[8:9], vcc
	s_xor_b64 s[8:9], exec, s[8:9]
; %bb.689:
	v_bfe_u32 v5, v4, 21, 1
	s_mov_b32 s10, 0x80fffff
	v_add3_u32 v5, v4, v5, s10
	v_lshrrev_b32_e32 v5, 21, v5
; %bb.690:
	s_andn2_saveexec_b64 s[8:9], s[8:9]
; %bb.691:
	s_mov_b32 s10, 0x43000000
	v_add_f32_e64 v5, |v4|, s10
; %bb.692:
	s_or_b64 exec, exec, s[8:9]
                                        ; implicit-def: $vgpr6
.LBB11_693:
	s_andn2_saveexec_b64 s[6:7], s[6:7]
; %bb.694:
	s_mov_b32 s8, 0x7f800000
	v_mov_b32_e32 v5, 0x7c
	v_mov_b32_e32 v7, 0x7f
	v_cmp_lt_u32_e32 vcc, s8, v6
	v_cndmask_b32_e32 v5, v5, v7, vcc
; %bb.695:
	s_or_b64 exec, exec, s[6:7]
	v_lshrrev_b32_e32 v4, 24, v4
	s_movk_i32 s6, 0x80
	v_and_or_b32 v4, v4, s6, v5
	global_store_byte v[2:3], v4, off
.LBB11_696:
	s_mov_b64 s[6:7], 0
	s_mov_b64 s[10:11], -1
.LBB11_697:
	s_andn2_b64 vcc, exec, s[6:7]
	s_mov_b64 s[8:9], 0
	s_cbranch_vccnz .LBB11_704
; %bb.698:
	v_mov_b32_e32 v4, 14
	v_cmp_gt_i16_sdwa s[8:9], s16, v4 src0_sel:BYTE_0 src1_sel:DWORD
	s_mov_b64 s[6:7], -1
	s_and_b64 vcc, exec, s[8:9]
	s_cbranch_vccz .LBB11_702
; %bb.699:
	v_mov_b32_e32 v4, 15
	v_cmp_eq_u16_sdwa s[6:7], s16, v4 src0_sel:BYTE_0 src1_sel:DWORD
	s_mov_b64 s[4:5], -1
	s_and_b64 vcc, exec, s[6:7]
	s_cbranch_vccz .LBB11_701
; %bb.700:
	v_cvt_f32_f64_e32 v4, v[42:43]
	v_bfe_u32 v5, v4, 16, 1
	s_movk_i32 s4, 0x7fff
	v_add3_u32 v5, v4, v5, s4
	v_lshrrev_b32_e32 v5, 16, v5
	v_mov_b32_e32 v6, 0x7fc0
	v_cmp_o_f32_e32 vcc, v4, v4
	v_cndmask_b32_e32 v4, v6, v5, vcc
	global_store_short v[2:3], v4, off
	s_mov_b64 s[4:5], 0
	s_mov_b64 s[10:11], -1
.LBB11_701:
	s_mov_b64 s[6:7], 0
.LBB11_702:
	s_mov_b64 s[8:9], 0
	s_and_b64 vcc, exec, s[6:7]
	s_cbranch_vccz .LBB11_704
; %bb.703:
	v_mov_b32_e32 v4, 11
	v_cmp_ne_u16_sdwa s[4:5], s16, v4 src0_sel:BYTE_0 src1_sel:DWORD
	s_mov_b64 s[8:9], -1
.LBB11_704:
	s_and_b64 vcc, exec, s[4:5]
	s_mov_b64 s[6:7], s[44:45]
	s_cbranch_vccnz .LBB11_759
; %bb.705:
	s_andn2_b64 vcc, exec, s[8:9]
	s_cbranch_vccnz .LBB11_707
.LBB11_706:
	v_cmp_neq_f64_e32 vcc, 0, v[42:43]
	v_cndmask_b32_e64 v4, 0, 1, vcc
	global_store_byte v[2:3], v4, off
	s_mov_b64 s[10:11], -1
.LBB11_707:
	s_branch .LBB11_635
.LBB11_708:
	v_mov_b32_e32 v4, 5
	v_cmp_lt_i16_sdwa s[8:9], s16, v4 src0_sel:BYTE_0 src1_sel:DWORD
	s_mov_b64 s[4:5], -1
	s_and_b64 vcc, exec, s[8:9]
	s_cbranch_vccnz .LBB11_729
; %bb.709:
	v_mov_b32_e32 v4, 8
	v_cmp_lt_i16_sdwa s[8:9], s16, v4 src0_sel:BYTE_0 src1_sel:DWORD
	s_and_b64 vcc, exec, s[8:9]
	s_cbranch_vccnz .LBB11_719
; %bb.710:
	v_mov_b32_e32 v4, 9
	v_cmp_lt_i16_sdwa s[8:9], s16, v4 src0_sel:BYTE_0 src1_sel:DWORD
	s_and_b64 vcc, exec, s[8:9]
	s_cbranch_vccnz .LBB11_716
; %bb.711:
	v_cmp_gt_i16_sdwa s[8:9], s16, v4 src0_sel:BYTE_0 src1_sel:DWORD
	s_and_b64 vcc, exec, s[8:9]
	s_cbranch_vccz .LBB11_713
; %bb.712:
	v_mov_b32_e32 v44, 0
	v_mov_b32_e32 v45, v44
	global_store_dwordx4 v[2:3], v[42:45], off
	s_mov_b64 s[4:5], 0
.LBB11_713:
	s_andn2_b64 vcc, exec, s[4:5]
	s_cbranch_vccnz .LBB11_715
; %bb.714:
	v_cvt_f32_f64_e32 v4, v[42:43]
	v_mov_b32_e32 v5, 0
	global_store_dwordx2 v[2:3], v[4:5], off
.LBB11_715:
	s_mov_b64 s[4:5], 0
.LBB11_716:
	s_andn2_b64 vcc, exec, s[4:5]
	s_cbranch_vccnz .LBB11_718
; %bb.717:
	v_cvt_f32_f64_e32 v4, v[42:43]
	v_cvt_f16_f32_e32 v4, v4
	global_store_dword v[2:3], v4, off
.LBB11_718:
	s_mov_b64 s[4:5], 0
.LBB11_719:
	s_andn2_b64 vcc, exec, s[4:5]
	s_cbranch_vccnz .LBB11_728
; %bb.720:
	v_mov_b32_e32 v4, 6
	v_cmp_lt_i16_sdwa s[8:9], s16, v4 src0_sel:BYTE_0 src1_sel:DWORD
	s_mov_b64 s[4:5], -1
	s_and_b64 vcc, exec, s[8:9]
	s_cbranch_vccnz .LBB11_726
; %bb.721:
	v_cmp_gt_i16_sdwa s[8:9], s16, v4 src0_sel:BYTE_0 src1_sel:DWORD
	s_and_b64 vcc, exec, s[8:9]
	s_cbranch_vccz .LBB11_723
; %bb.722:
	global_store_dwordx2 v[2:3], v[42:43], off
	s_mov_b64 s[4:5], 0
.LBB11_723:
	s_andn2_b64 vcc, exec, s[4:5]
	s_cbranch_vccnz .LBB11_725
; %bb.724:
	v_cvt_f32_f64_e32 v4, v[42:43]
	global_store_dword v[2:3], v4, off
.LBB11_725:
	s_mov_b64 s[4:5], 0
.LBB11_726:
	s_andn2_b64 vcc, exec, s[4:5]
	s_cbranch_vccnz .LBB11_728
; %bb.727:
	v_cvt_f32_f64_e32 v4, v[42:43]
	v_cvt_f16_f32_e32 v4, v4
	global_store_short v[2:3], v4, off
.LBB11_728:
	s_mov_b64 s[4:5], 0
.LBB11_729:
	s_andn2_b64 vcc, exec, s[4:5]
	s_cbranch_vccnz .LBB11_745
; %bb.730:
	v_mov_b32_e32 v4, 2
	v_cmp_lt_i16_sdwa s[8:9], s16, v4 src0_sel:BYTE_0 src1_sel:DWORD
	s_mov_b64 s[4:5], -1
	s_and_b64 vcc, exec, s[8:9]
	s_cbranch_vccnz .LBB11_740
; %bb.731:
	v_mov_b32_e32 v4, 3
	v_cmp_lt_i16_sdwa s[8:9], s16, v4 src0_sel:BYTE_0 src1_sel:DWORD
	s_and_b64 vcc, exec, s[8:9]
	s_cbranch_vccnz .LBB11_737
; %bb.732:
	v_cmp_gt_i16_sdwa s[8:9], s16, v4 src0_sel:BYTE_0 src1_sel:DWORD
	s_and_b64 vcc, exec, s[8:9]
	s_cbranch_vccz .LBB11_734
; %bb.733:
	v_trunc_f64_e32 v[4:5], v[42:43]
	s_movk_i32 s4, 0xffe0
	v_ldexp_f64 v[6:7], v[4:5], s4
	v_floor_f64_e32 v[6:7], v[6:7]
	v_fmac_f64_e32 v[4:5], 0xc1f00000, v[6:7]
	v_cvt_i32_f64_e32 v9, v[6:7]
	v_cvt_u32_f64_e32 v8, v[4:5]
	global_store_dwordx2 v[2:3], v[8:9], off
	s_mov_b64 s[4:5], 0
.LBB11_734:
	s_andn2_b64 vcc, exec, s[4:5]
	s_cbranch_vccnz .LBB11_736
; %bb.735:
	v_cvt_i32_f64_e32 v4, v[42:43]
	global_store_dword v[2:3], v4, off
.LBB11_736:
	s_mov_b64 s[4:5], 0
.LBB11_737:
	s_andn2_b64 vcc, exec, s[4:5]
	s_cbranch_vccnz .LBB11_739
; %bb.738:
	v_cvt_i32_f64_e32 v4, v[42:43]
	global_store_short v[2:3], v4, off
.LBB11_739:
	s_mov_b64 s[4:5], 0
.LBB11_740:
	s_andn2_b64 vcc, exec, s[4:5]
	s_cbranch_vccnz .LBB11_745
; %bb.741:
	v_mov_b32_e32 v4, 0
	v_cmp_gt_i16_sdwa s[8:9], s16, v4 src0_sel:BYTE_0 src1_sel:DWORD
	s_mov_b64 s[4:5], -1
	s_and_b64 vcc, exec, s[8:9]
	s_cbranch_vccz .LBB11_743
; %bb.742:
	v_cvt_i32_f64_e32 v4, v[42:43]
	global_store_byte v[2:3], v4, off
	s_mov_b64 s[4:5], 0
.LBB11_743:
	s_andn2_b64 vcc, exec, s[4:5]
	s_cbranch_vccnz .LBB11_745
; %bb.744:
	v_trunc_f64_e32 v[4:5], v[42:43]
	s_movk_i32 s4, 0xffe0
	v_ldexp_f64 v[6:7], v[4:5], s4
	v_floor_f64_e32 v[6:7], v[6:7]
	v_fmac_f64_e32 v[4:5], 0xc1f00000, v[6:7]
	v_cvt_u32_f64_e32 v4, v[4:5]
	global_store_byte v[2:3], v4, off
.LBB11_745:
.LBB11_746:
	v_mov_b32_e32 v3, s41
	v_add_co_u32_e32 v2, vcc, s40, v52
	v_mov_b32_e32 v4, 11
	v_addc_co_u32_e32 v3, vcc, 0, v3, vcc
	v_cmp_lt_i16_sdwa s[4:5], s16, v4 src0_sel:BYTE_0 src1_sel:DWORD
	s_and_b64 vcc, exec, s[4:5]
	s_cbranch_vccnz .LBB11_753
; %bb.747:
	v_mov_b32_e32 v4, 25
	v_cmp_gt_i16_sdwa s[4:5], s16, v4 src0_sel:BYTE_0 src1_sel:DWORD
	s_mov_b64 s[12:13], -1
	s_mov_b64 s[8:9], 0
	s_and_b64 vcc, exec, s[4:5]
	s_mov_b64 s[10:11], 0
	s_mov_b64 s[4:5], 0
	s_cbranch_vccz .LBB11_790
; %bb.748:
	v_mov_b32_e32 v4, 28
	v_cmp_gt_i16_sdwa s[4:5], s16, v4 src0_sel:BYTE_0 src1_sel:DWORD
	s_and_b64 vcc, exec, s[4:5]
	s_cbranch_vccz .LBB11_755
; %bb.749:
	v_mov_b32_e32 v4, 43
	v_cmp_gt_i16_sdwa s[4:5], s16, v4 src0_sel:BYTE_0 src1_sel:DWORD
	s_and_b64 vcc, exec, s[4:5]
	s_cbranch_vccz .LBB11_758
; %bb.750:
	v_mov_b32_e32 v4, 45
	v_cmp_gt_i16_sdwa s[4:5], s16, v4 src0_sel:BYTE_0 src1_sel:DWORD
	s_and_b64 vcc, exec, s[4:5]
	s_cbranch_vccz .LBB11_762
; %bb.751:
	v_mov_b32_e32 v4, 46
	v_cmp_eq_u16_sdwa s[10:11], s16, v4 src0_sel:BYTE_0 src1_sel:DWORD
	s_mov_b64 s[4:5], -1
	s_mov_b64 s[12:13], 0
	s_and_b64 vcc, exec, s[10:11]
	s_mov_b64 s[10:11], 0
	s_cbranch_vccz .LBB11_763
; %bb.752:
	v_cvt_f32_f64_e32 v4, v[40:41]
	v_bfe_u32 v5, v4, 16, 1
	s_movk_i32 s4, 0x7fff
	v_add3_u32 v5, v4, v5, s4
	v_lshrrev_b32_e32 v5, 16, v5
	v_mov_b32_e32 v6, 0x7fc0
	v_cmp_o_f32_e32 vcc, v4, v4
	v_cndmask_b32_e32 v4, v6, v5, vcc
	global_store_dword v[2:3], v4, off
	s_mov_b64 s[4:5], 0
	s_mov_b64 s[10:11], -1
	s_branch .LBB11_763
.LBB11_753:
	s_mov_b64 s[10:11], 0
	s_cbranch_execnz .LBB11_834
.LBB11_754:
	s_andn2_b64 vcc, exec, s[10:11]
	s_cbranch_vccz .LBB11_872
	s_branch .LBB11_1075
.LBB11_755:
	s_mov_b64 s[4:5], 0
	s_branch .LBB11_773
.LBB11_756:
	s_or_saveexec_b64 s[12:13], s[12:13]
                                        ; implicit-def: $sgpr14
	s_xor_b64 exec, exec, s[12:13]
	s_cbranch_execz .LBB11_658
.LBB11_757:
	s_mov_b32 s14, 0x46000000
	v_add_f32_e64 v5, |v4|, s14
	v_and_b32_e32 v5, 0xff, v5
	v_cmp_ne_u32_e32 vcc, 0, v5
	s_andn2_b64 s[10:11], s[10:11], exec
	s_and_b64 s[18:19], vcc, exec
	s_mov_b32 s14, 0
	s_or_b64 s[10:11], s[10:11], s[18:19]
	s_or_b64 exec, exec, s[12:13]
	v_mov_b32_e32 v6, s14
	s_and_saveexec_b64 s[12:13], s[10:11]
	s_cbranch_execnz .LBB11_659
	s_branch .LBB11_660
.LBB11_758:
	s_mov_b64 s[4:5], 0
	s_branch .LBB11_769
.LBB11_759:
	s_or_b64 s[6:7], s[44:45], exec
	s_trap 2
	s_cbranch_execz .LBB11_706
	s_branch .LBB11_707
.LBB11_760:
	s_or_saveexec_b64 s[10:11], s[10:11]
                                        ; implicit-def: $sgpr12
	s_xor_b64 exec, exec, s[10:11]
	s_cbranch_execz .LBB11_671
.LBB11_761:
	s_mov_b32 s12, 0x42800000
	v_add_f32_e64 v5, |v4|, s12
	v_and_b32_e32 v5, 0xff, v5
	v_cmp_ne_u32_e32 vcc, 0, v5
	s_andn2_b64 s[8:9], s[8:9], exec
	s_and_b64 s[14:15], vcc, exec
	s_mov_b32 s12, 0
	s_or_b64 s[8:9], s[8:9], s[14:15]
	s_or_b64 exec, exec, s[10:11]
	v_mov_b32_e32 v6, s12
	s_and_saveexec_b64 s[10:11], s[8:9]
	s_cbranch_execnz .LBB11_672
	s_branch .LBB11_673
.LBB11_762:
	s_mov_b64 s[4:5], 0
.LBB11_763:
	s_and_b64 vcc, exec, s[12:13]
	s_cbranch_vccz .LBB11_768
; %bb.764:
	v_mov_b32_e32 v4, 44
	v_cmp_eq_u16_sdwa s[12:13], s16, v4 src0_sel:BYTE_0 src1_sel:DWORD
	s_mov_b64 s[4:5], -1
	s_and_b64 vcc, exec, s[12:13]
	s_cbranch_vccz .LBB11_768
; %bb.765:
	v_cvt_f32_f64_e32 v4, v[40:41]
	v_bfe_u32 v5, v4, 23, 8
	s_movk_i32 s4, 0xff
	v_cmp_ne_u32_e32 vcc, s4, v5
	v_mov_b32_e32 v6, 0xff
	s_and_saveexec_b64 s[10:11], vcc
; %bb.766:
	s_mov_b32 s4, 0x3fffff
	v_lshrrev_b32_e32 v6, 23, v4
	v_and_b32_e32 v7, 0x400000, v4
	v_and_or_b32 v4, v4, s4, v5
	v_cmp_ne_u32_e32 vcc, 0, v7
	v_cmp_ne_u32_e64 s[4:5], 0, v4
	s_and_b64 s[4:5], vcc, s[4:5]
	v_cndmask_b32_e64 v4, 0, 1, s[4:5]
	v_add_u32_e32 v6, v6, v4
; %bb.767:
	s_or_b64 exec, exec, s[10:11]
	s_mov_b64 s[4:5], 0
	s_mov_b64 s[10:11], -1
	global_store_byte v[2:3], v6, off
.LBB11_768:
	s_mov_b64 s[12:13], 0
.LBB11_769:
	s_and_b64 vcc, exec, s[12:13]
	s_cbranch_vccz .LBB11_772
; %bb.770:
	v_mov_b32_e32 v4, 29
	v_cmp_eq_u16_sdwa s[12:13], s16, v4 src0_sel:BYTE_0 src1_sel:DWORD
	s_mov_b64 s[4:5], -1
	s_and_b64 vcc, exec, s[12:13]
	s_cbranch_vccz .LBB11_772
; %bb.771:
	v_trunc_f64_e32 v[4:5], v[40:41]
	s_movk_i32 s4, 0xffe0
	v_ldexp_f64 v[6:7], v[4:5], s4
	v_floor_f64_e32 v[6:7], v[6:7]
	v_fmac_f64_e32 v[4:5], 0xc1f00000, v[6:7]
	v_cvt_u32_f64_e32 v9, v[6:7]
	v_cvt_u32_f64_e32 v8, v[4:5]
	global_store_dwordx2 v[2:3], v[8:9], off
	s_mov_b64 s[4:5], 0
	s_mov_b64 s[10:11], -1
.LBB11_772:
	s_mov_b64 s[12:13], 0
.LBB11_773:
	s_and_b64 vcc, exec, s[12:13]
	s_cbranch_vccz .LBB11_789
; %bb.774:
	v_mov_b32_e32 v4, 27
	v_cmp_lt_i16_sdwa s[12:13], s16, v4 src0_sel:BYTE_0 src1_sel:DWORD
	s_mov_b64 s[10:11], -1
	s_and_b64 vcc, exec, s[12:13]
	s_cbranch_vccnz .LBB11_780
; %bb.775:
	v_cmp_gt_i16_sdwa s[12:13], s16, v4 src0_sel:BYTE_0 src1_sel:DWORD
	s_and_b64 vcc, exec, s[12:13]
	s_cbranch_vccz .LBB11_777
; %bb.776:
	v_cvt_u32_f64_e32 v4, v[40:41]
	s_mov_b64 s[10:11], 0
	global_store_dword v[2:3], v4, off
.LBB11_777:
	s_andn2_b64 vcc, exec, s[10:11]
	s_cbranch_vccnz .LBB11_779
; %bb.778:
	v_cvt_u32_f64_e32 v4, v[40:41]
	global_store_short v[2:3], v4, off
.LBB11_779:
	s_mov_b64 s[10:11], 0
.LBB11_780:
	s_andn2_b64 vcc, exec, s[10:11]
	s_cbranch_vccnz .LBB11_788
; %bb.781:
	v_cvt_f32_f64_e32 v4, v[40:41]
	v_and_b32_e32 v5, 0x7fffffff, v4
	s_mov_b32 s10, 0x43800000
	v_cmp_gt_u32_e32 vcc, s10, v5
	v_mov_b32_e32 v6, 0x80
	s_and_saveexec_b64 s[10:11], vcc
	s_cbranch_execz .LBB11_787
; %bb.782:
	s_mov_b32 s12, 0x3bffffff
	v_cmp_lt_u32_e32 vcc, s12, v5
	s_mov_b64 s[12:13], 0
                                        ; implicit-def: $vgpr5
	s_and_saveexec_b64 s[14:15], vcc
	s_xor_b64 s[14:15], exec, s[14:15]
	s_cbranch_execz .LBB11_959
; %bb.783:
	v_bfe_u32 v5, v4, 20, 1
	s_mov_b32 s17, 0x487ffff
	v_add3_u32 v5, v4, v5, s17
	s_mov_b64 s[12:13], exec
	v_lshrrev_b32_e32 v5, 20, v5
	s_or_saveexec_b64 s[14:15], s[14:15]
                                        ; implicit-def: $sgpr17
	s_xor_b64 exec, exec, s[14:15]
	s_cbranch_execnz .LBB11_960
.LBB11_784:
	s_or_b64 exec, exec, s[14:15]
	v_mov_b32_e32 v6, s17
	s_and_saveexec_b64 s[14:15], s[12:13]
.LBB11_785:
	v_lshrrev_b32_e32 v4, 24, v4
	s_movk_i32 s12, 0x80
	v_and_or_b32 v6, v4, s12, v5
.LBB11_786:
	s_or_b64 exec, exec, s[14:15]
.LBB11_787:
	s_or_b64 exec, exec, s[10:11]
	global_store_byte v[2:3], v6, off
.LBB11_788:
	s_mov_b64 s[10:11], -1
.LBB11_789:
	s_mov_b64 s[12:13], 0
.LBB11_790:
	s_and_b64 vcc, exec, s[12:13]
	s_cbranch_vccz .LBB11_830
; %bb.791:
	v_mov_b32_e32 v4, 22
	v_cmp_gt_i16_sdwa s[12:13], s16, v4 src0_sel:BYTE_0 src1_sel:DWORD
	s_mov_b64 s[8:9], -1
	s_and_b64 vcc, exec, s[12:13]
	s_cbranch_vccz .LBB11_823
; %bb.792:
	v_mov_b32_e32 v4, 24
	v_cmp_lt_i16_sdwa s[10:11], s16, v4 src0_sel:BYTE_0 src1_sel:DWORD
	s_and_b64 vcc, exec, s[10:11]
	s_cbranch_vccnz .LBB11_812
; %bb.793:
	v_cmp_gt_i16_sdwa s[10:11], s16, v4 src0_sel:BYTE_0 src1_sel:DWORD
	s_and_b64 vcc, exec, s[10:11]
	s_cbranch_vccz .LBB11_801
; %bb.794:
	v_cvt_f32_f64_e32 v4, v[40:41]
	v_and_b32_e32 v5, 0x7fffffff, v4
	s_mov_b32 s8, 0x47800000
	v_cmp_gt_u32_e32 vcc, s8, v5
	v_mov_b32_e32 v6, 0x80
	s_and_saveexec_b64 s[8:9], vcc
	s_cbranch_execz .LBB11_800
; %bb.795:
	s_mov_b32 s10, 0x37ffffff
	v_cmp_lt_u32_e32 vcc, s10, v5
	s_mov_b64 s[10:11], 0
                                        ; implicit-def: $vgpr5
	s_and_saveexec_b64 s[12:13], vcc
	s_xor_b64 s[12:13], exec, s[12:13]
	s_cbranch_execz .LBB11_963
; %bb.796:
	v_bfe_u32 v5, v4, 21, 1
	s_mov_b32 s14, 0x88fffff
	v_add3_u32 v5, v4, v5, s14
	s_mov_b64 s[10:11], exec
	v_lshrrev_b32_e32 v5, 21, v5
	s_or_saveexec_b64 s[12:13], s[12:13]
                                        ; implicit-def: $sgpr14
	s_xor_b64 exec, exec, s[12:13]
	s_cbranch_execnz .LBB11_964
.LBB11_797:
	s_or_b64 exec, exec, s[12:13]
	v_mov_b32_e32 v6, s14
	s_and_saveexec_b64 s[12:13], s[10:11]
.LBB11_798:
	v_lshrrev_b32_e32 v4, 24, v4
	s_movk_i32 s10, 0x80
	v_and_or_b32 v6, v4, s10, v5
.LBB11_799:
	s_or_b64 exec, exec, s[12:13]
.LBB11_800:
	s_or_b64 exec, exec, s[8:9]
	s_mov_b64 s[8:9], 0
	global_store_byte v[2:3], v6, off
.LBB11_801:
	s_and_b64 vcc, exec, s[8:9]
	s_cbranch_vccz .LBB11_811
; %bb.802:
	v_cvt_f32_f64_e32 v4, v[40:41]
	v_and_b32_e32 v6, 0x7fffffff, v4
	s_mov_b32 s8, 0x43f00000
	v_cmp_gt_u32_e32 vcc, s8, v6
                                        ; implicit-def: $vgpr5
	s_and_saveexec_b64 s[8:9], vcc
	s_xor_b64 s[8:9], exec, s[8:9]
	s_cbranch_execz .LBB11_808
; %bb.803:
	s_mov_b32 s10, 0x3c7fffff
	v_cmp_lt_u32_e32 vcc, s10, v6
                                        ; implicit-def: $vgpr5
	s_and_saveexec_b64 s[10:11], vcc
	s_xor_b64 s[10:11], exec, s[10:11]
; %bb.804:
	v_bfe_u32 v5, v4, 20, 1
	s_mov_b32 s12, 0x407ffff
	v_add3_u32 v5, v4, v5, s12
	v_lshrrev_b32_e32 v6, 20, v5
	v_and_b32_e32 v5, 0xff00000, v5
	s_mov_b32 s12, 0x7f00000
	v_mov_b32_e32 v7, 0x7e
	v_cmp_ne_u32_e32 vcc, s12, v5
	v_cndmask_b32_e32 v5, v7, v6, vcc
; %bb.805:
	s_andn2_saveexec_b64 s[10:11], s[10:11]
; %bb.806:
	s_mov_b32 s12, 0x46800000
	v_add_f32_e64 v5, |v4|, s12
; %bb.807:
	s_or_b64 exec, exec, s[10:11]
                                        ; implicit-def: $vgpr6
.LBB11_808:
	s_andn2_saveexec_b64 s[8:9], s[8:9]
; %bb.809:
	s_mov_b32 s10, 0x7f800000
	v_mov_b32_e32 v5, 0x7e
	v_mov_b32_e32 v7, 0x7f
	v_cmp_lt_u32_e32 vcc, s10, v6
	v_cndmask_b32_e32 v5, v5, v7, vcc
; %bb.810:
	s_or_b64 exec, exec, s[8:9]
	v_lshrrev_b32_e32 v4, 24, v4
	s_movk_i32 s8, 0x80
	v_and_or_b32 v4, v4, s8, v5
	global_store_byte v[2:3], v4, off
.LBB11_811:
	s_mov_b64 s[8:9], 0
.LBB11_812:
	s_andn2_b64 vcc, exec, s[8:9]
	s_cbranch_vccnz .LBB11_822
; %bb.813:
	v_cvt_f32_f64_e32 v4, v[40:41]
	v_and_b32_e32 v6, 0x7fffffff, v4
	s_mov_b32 s8, 0x47800000
	v_cmp_gt_u32_e32 vcc, s8, v6
                                        ; implicit-def: $vgpr5
	s_and_saveexec_b64 s[8:9], vcc
	s_xor_b64 s[8:9], exec, s[8:9]
	s_cbranch_execz .LBB11_819
; %bb.814:
	s_mov_b32 s10, 0x387fffff
	v_cmp_lt_u32_e32 vcc, s10, v6
                                        ; implicit-def: $vgpr5
	s_and_saveexec_b64 s[10:11], vcc
	s_xor_b64 s[10:11], exec, s[10:11]
; %bb.815:
	v_bfe_u32 v5, v4, 21, 1
	s_mov_b32 s12, 0x80fffff
	v_add3_u32 v5, v4, v5, s12
	v_lshrrev_b32_e32 v5, 21, v5
; %bb.816:
	s_andn2_saveexec_b64 s[10:11], s[10:11]
; %bb.817:
	s_mov_b32 s12, 0x43000000
	v_add_f32_e64 v5, |v4|, s12
; %bb.818:
	s_or_b64 exec, exec, s[10:11]
                                        ; implicit-def: $vgpr6
.LBB11_819:
	s_andn2_saveexec_b64 s[8:9], s[8:9]
; %bb.820:
	s_mov_b32 s10, 0x7f800000
	v_mov_b32_e32 v5, 0x7c
	v_mov_b32_e32 v7, 0x7f
	v_cmp_lt_u32_e32 vcc, s10, v6
	v_cndmask_b32_e32 v5, v5, v7, vcc
; %bb.821:
	s_or_b64 exec, exec, s[8:9]
	v_lshrrev_b32_e32 v4, 24, v4
	s_movk_i32 s8, 0x80
	v_and_or_b32 v4, v4, s8, v5
	global_store_byte v[2:3], v4, off
.LBB11_822:
	s_mov_b64 s[8:9], 0
	s_mov_b64 s[10:11], -1
.LBB11_823:
	s_andn2_b64 vcc, exec, s[8:9]
	s_mov_b64 s[8:9], 0
	s_cbranch_vccnz .LBB11_830
; %bb.824:
	v_mov_b32_e32 v4, 14
	v_cmp_gt_i16_sdwa s[8:9], s16, v4 src0_sel:BYTE_0 src1_sel:DWORD
	s_mov_b64 s[12:13], -1
	s_and_b64 vcc, exec, s[8:9]
	s_cbranch_vccz .LBB11_828
; %bb.825:
	v_mov_b32_e32 v4, 15
	v_cmp_eq_u16_sdwa s[8:9], s16, v4 src0_sel:BYTE_0 src1_sel:DWORD
	s_mov_b64 s[4:5], -1
	s_and_b64 vcc, exec, s[8:9]
	s_cbranch_vccz .LBB11_827
; %bb.826:
	v_cvt_f32_f64_e32 v4, v[40:41]
	v_bfe_u32 v5, v4, 16, 1
	s_movk_i32 s4, 0x7fff
	v_add3_u32 v5, v4, v5, s4
	v_lshrrev_b32_e32 v5, 16, v5
	v_mov_b32_e32 v6, 0x7fc0
	v_cmp_o_f32_e32 vcc, v4, v4
	v_cndmask_b32_e32 v4, v6, v5, vcc
	global_store_short v[2:3], v4, off
	s_mov_b64 s[4:5], 0
	s_mov_b64 s[10:11], -1
.LBB11_827:
	s_mov_b64 s[12:13], 0
.LBB11_828:
	s_mov_b64 s[8:9], 0
	s_and_b64 vcc, exec, s[12:13]
	s_cbranch_vccz .LBB11_830
; %bb.829:
	v_mov_b32_e32 v4, 11
	v_cmp_ne_u16_sdwa s[4:5], s16, v4 src0_sel:BYTE_0 src1_sel:DWORD
	s_mov_b64 s[8:9], -1
.LBB11_830:
	s_and_b64 vcc, exec, s[4:5]
	s_cbranch_vccnz .LBB11_962
; %bb.831:
	s_andn2_b64 vcc, exec, s[8:9]
	s_cbranch_vccnz .LBB11_833
.LBB11_832:
	v_cmp_neq_f64_e32 vcc, 0, v[40:41]
	v_cndmask_b32_e64 v4, 0, 1, vcc
	s_mov_b64 s[10:11], -1
	global_store_byte v[2:3], v4, off
.LBB11_833:
	s_branch .LBB11_754
.LBB11_834:
	v_mov_b32_e32 v4, 5
	v_cmp_lt_i16_sdwa s[8:9], s16, v4 src0_sel:BYTE_0 src1_sel:DWORD
	s_mov_b64 s[4:5], -1
	s_and_b64 vcc, exec, s[8:9]
	s_cbranch_vccnz .LBB11_855
; %bb.835:
	v_mov_b32_e32 v4, 8
	v_cmp_lt_i16_sdwa s[8:9], s16, v4 src0_sel:BYTE_0 src1_sel:DWORD
	s_and_b64 vcc, exec, s[8:9]
	s_cbranch_vccnz .LBB11_845
; %bb.836:
	v_mov_b32_e32 v4, 9
	v_cmp_lt_i16_sdwa s[8:9], s16, v4 src0_sel:BYTE_0 src1_sel:DWORD
	s_and_b64 vcc, exec, s[8:9]
	s_cbranch_vccnz .LBB11_842
; %bb.837:
	v_cmp_gt_i16_sdwa s[8:9], s16, v4 src0_sel:BYTE_0 src1_sel:DWORD
	s_and_b64 vcc, exec, s[8:9]
	s_cbranch_vccz .LBB11_839
; %bb.838:
	v_mov_b32_e32 v42, 0
	v_mov_b32_e32 v43, v42
	global_store_dwordx4 v[2:3], v[40:43], off
	s_mov_b64 s[4:5], 0
.LBB11_839:
	s_andn2_b64 vcc, exec, s[4:5]
	s_cbranch_vccnz .LBB11_841
; %bb.840:
	v_cvt_f32_f64_e32 v4, v[40:41]
	v_mov_b32_e32 v5, 0
	global_store_dwordx2 v[2:3], v[4:5], off
.LBB11_841:
	s_mov_b64 s[4:5], 0
.LBB11_842:
	s_andn2_b64 vcc, exec, s[4:5]
	s_cbranch_vccnz .LBB11_844
; %bb.843:
	v_cvt_f32_f64_e32 v4, v[40:41]
	v_cvt_f16_f32_e32 v4, v4
	global_store_dword v[2:3], v4, off
.LBB11_844:
	s_mov_b64 s[4:5], 0
.LBB11_845:
	s_andn2_b64 vcc, exec, s[4:5]
	s_cbranch_vccnz .LBB11_854
; %bb.846:
	v_mov_b32_e32 v4, 6
	v_cmp_lt_i16_sdwa s[8:9], s16, v4 src0_sel:BYTE_0 src1_sel:DWORD
	s_mov_b64 s[4:5], -1
	s_and_b64 vcc, exec, s[8:9]
	s_cbranch_vccnz .LBB11_852
; %bb.847:
	v_cmp_gt_i16_sdwa s[8:9], s16, v4 src0_sel:BYTE_0 src1_sel:DWORD
	s_and_b64 vcc, exec, s[8:9]
	s_cbranch_vccz .LBB11_849
; %bb.848:
	global_store_dwordx2 v[2:3], v[40:41], off
	s_mov_b64 s[4:5], 0
.LBB11_849:
	s_andn2_b64 vcc, exec, s[4:5]
	s_cbranch_vccnz .LBB11_851
; %bb.850:
	v_cvt_f32_f64_e32 v4, v[40:41]
	global_store_dword v[2:3], v4, off
.LBB11_851:
	s_mov_b64 s[4:5], 0
.LBB11_852:
	s_andn2_b64 vcc, exec, s[4:5]
	s_cbranch_vccnz .LBB11_854
; %bb.853:
	v_cvt_f32_f64_e32 v4, v[40:41]
	v_cvt_f16_f32_e32 v4, v4
	global_store_short v[2:3], v4, off
.LBB11_854:
	s_mov_b64 s[4:5], 0
.LBB11_855:
	s_andn2_b64 vcc, exec, s[4:5]
	s_cbranch_vccnz .LBB11_871
; %bb.856:
	v_mov_b32_e32 v4, 2
	v_cmp_lt_i16_sdwa s[8:9], s16, v4 src0_sel:BYTE_0 src1_sel:DWORD
	s_mov_b64 s[4:5], -1
	s_and_b64 vcc, exec, s[8:9]
	s_cbranch_vccnz .LBB11_866
; %bb.857:
	v_mov_b32_e32 v4, 3
	v_cmp_lt_i16_sdwa s[8:9], s16, v4 src0_sel:BYTE_0 src1_sel:DWORD
	s_and_b64 vcc, exec, s[8:9]
	s_cbranch_vccnz .LBB11_863
; %bb.858:
	v_cmp_gt_i16_sdwa s[8:9], s16, v4 src0_sel:BYTE_0 src1_sel:DWORD
	s_and_b64 vcc, exec, s[8:9]
	s_cbranch_vccz .LBB11_860
; %bb.859:
	v_trunc_f64_e32 v[4:5], v[40:41]
	s_movk_i32 s4, 0xffe0
	v_ldexp_f64 v[6:7], v[4:5], s4
	v_floor_f64_e32 v[6:7], v[6:7]
	v_fmac_f64_e32 v[4:5], 0xc1f00000, v[6:7]
	v_cvt_i32_f64_e32 v9, v[6:7]
	v_cvt_u32_f64_e32 v8, v[4:5]
	global_store_dwordx2 v[2:3], v[8:9], off
	s_mov_b64 s[4:5], 0
.LBB11_860:
	s_andn2_b64 vcc, exec, s[4:5]
	s_cbranch_vccnz .LBB11_862
; %bb.861:
	v_cvt_i32_f64_e32 v4, v[40:41]
	global_store_dword v[2:3], v4, off
.LBB11_862:
	s_mov_b64 s[4:5], 0
.LBB11_863:
	s_andn2_b64 vcc, exec, s[4:5]
	s_cbranch_vccnz .LBB11_865
; %bb.864:
	v_cvt_i32_f64_e32 v4, v[40:41]
	global_store_short v[2:3], v4, off
.LBB11_865:
	s_mov_b64 s[4:5], 0
.LBB11_866:
	s_andn2_b64 vcc, exec, s[4:5]
	s_cbranch_vccnz .LBB11_871
; %bb.867:
	v_mov_b32_e32 v4, 0
	v_cmp_gt_i16_sdwa s[8:9], s16, v4 src0_sel:BYTE_0 src1_sel:DWORD
	s_mov_b64 s[4:5], -1
	s_and_b64 vcc, exec, s[8:9]
	s_cbranch_vccz .LBB11_869
; %bb.868:
	v_cvt_i32_f64_e32 v4, v[40:41]
	global_store_byte v[2:3], v4, off
	s_mov_b64 s[4:5], 0
.LBB11_869:
	s_andn2_b64 vcc, exec, s[4:5]
	s_cbranch_vccnz .LBB11_871
; %bb.870:
	v_trunc_f64_e32 v[4:5], v[40:41]
	s_movk_i32 s4, 0xffe0
	v_ldexp_f64 v[6:7], v[4:5], s4
	v_floor_f64_e32 v[6:7], v[6:7]
	v_fmac_f64_e32 v[4:5], 0xc1f00000, v[6:7]
	v_cvt_u32_f64_e32 v4, v[4:5]
	global_store_byte v[2:3], v4, off
.LBB11_871:
.LBB11_872:
	v_mov_b32_e32 v3, s41
	v_add_co_u32_e32 v2, vcc, s40, v50
	v_mov_b32_e32 v4, 11
	v_addc_co_u32_e32 v3, vcc, 0, v3, vcc
	v_cmp_lt_i16_sdwa s[4:5], s16, v4 src0_sel:BYTE_0 src1_sel:DWORD
	s_and_b64 vcc, exec, s[4:5]
	s_cbranch_vccnz .LBB11_879
; %bb.873:
	v_mov_b32_e32 v4, 25
	v_cmp_gt_i16_sdwa s[4:5], s16, v4 src0_sel:BYTE_0 src1_sel:DWORD
	s_mov_b64 s[12:13], -1
	s_mov_b64 s[8:9], 0
	s_and_b64 vcc, exec, s[4:5]
	s_mov_b64 s[10:11], 0
	s_mov_b64 s[4:5], 0
	s_cbranch_vccz .LBB11_993
; %bb.874:
	v_mov_b32_e32 v4, 28
	v_cmp_gt_i16_sdwa s[4:5], s16, v4 src0_sel:BYTE_0 src1_sel:DWORD
	s_and_b64 vcc, exec, s[4:5]
	s_cbranch_vccz .LBB11_958
; %bb.875:
	v_mov_b32_e32 v4, 43
	v_cmp_gt_i16_sdwa s[4:5], s16, v4 src0_sel:BYTE_0 src1_sel:DWORD
	s_and_b64 vcc, exec, s[4:5]
	;; [unrolled: 5-line block ×3, first 2 shown]
	s_cbranch_vccz .LBB11_965
; %bb.877:
	v_mov_b32_e32 v4, 46
	v_cmp_eq_u16_sdwa s[10:11], s16, v4 src0_sel:BYTE_0 src1_sel:DWORD
	s_mov_b64 s[4:5], -1
	s_mov_b64 s[12:13], 0
	s_and_b64 vcc, exec, s[10:11]
	s_mov_b64 s[10:11], 0
	s_cbranch_vccz .LBB11_966
; %bb.878:
	v_cvt_f32_f64_e32 v4, v[38:39]
	v_bfe_u32 v5, v4, 16, 1
	s_movk_i32 s4, 0x7fff
	v_add3_u32 v5, v4, v5, s4
	v_lshrrev_b32_e32 v5, 16, v5
	v_mov_b32_e32 v6, 0x7fc0
	v_cmp_o_f32_e32 vcc, v4, v4
	v_cndmask_b32_e32 v4, v6, v5, vcc
	global_store_dword v[2:3], v4, off
	s_mov_b64 s[4:5], 0
	s_mov_b64 s[10:11], -1
	s_branch .LBB11_966
.LBB11_879:
	s_mov_b64 s[10:11], 0
	s_cbranch_execnz .LBB11_1037
.LBB11_880:
	s_andn2_b64 vcc, exec, s[10:11]
	s_cbranch_vccnz .LBB11_1075
.LBB11_881:
	v_mov_b32_e32 v2, s41
	v_add_co_u32_e32 v4, vcc, s40, v48
	v_addc_co_u32_e32 v5, vcc, 0, v2, vcc
	v_mov_b32_e32 v2, 0xff
	v_and_b32_e32 v7, s16, v2
	v_cmp_gt_i16_e32 vcc, 11, v7
	s_cbranch_vccnz .LBB11_957
; %bb.882:
	v_cmp_lt_i16_e32 vcc, 25, v7
	s_mov_b64 s[10:11], -1
	s_mov_b64 s[8:9], 0
	s_mov_b64 s[4:5], 0
	s_cbranch_vccz .LBB11_915
; %bb.883:
	v_cmp_lt_i16_e32 vcc, 28, v7
	s_cbranch_vccz .LBB11_899
; %bb.884:
	v_cmp_lt_i16_e32 vcc, 43, v7
	;; [unrolled: 3-line block ×3, first 2 shown]
	s_cbranch_vccz .LBB11_889
; %bb.886:
	v_cmp_eq_u16_e32 vcc, 46, v7
	s_mov_b64 s[4:5], -1
	s_cbranch_vccz .LBB11_888
; %bb.887:
	v_cvt_f32_f64_e32 v2, v[0:1]
	v_bfe_u32 v3, v2, 16, 1
	s_movk_i32 s4, 0x7fff
	v_add3_u32 v3, v2, v3, s4
	v_lshrrev_b32_e32 v3, 16, v3
	v_mov_b32_e32 v6, 0x7fc0
	v_cmp_o_f32_e32 vcc, v2, v2
	v_cndmask_b32_e32 v2, v6, v3, vcc
	global_store_dword v[4:5], v2, off
	s_mov_b64 s[4:5], 0
.LBB11_888:
	s_mov_b64 s[10:11], 0
.LBB11_889:
	s_and_b64 vcc, exec, s[10:11]
	s_cbranch_vccz .LBB11_894
; %bb.890:
	v_cmp_eq_u16_e32 vcc, 44, v7
	s_mov_b64 s[4:5], -1
	s_cbranch_vccz .LBB11_894
; %bb.891:
	v_cvt_f32_f64_e32 v2, v[0:1]
	v_bfe_u32 v3, v2, 23, 8
	s_movk_i32 s4, 0xff
	v_cmp_ne_u32_e32 vcc, s4, v3
	v_mov_b32_e32 v6, 0xff
	s_and_saveexec_b64 s[10:11], vcc
; %bb.892:
	s_mov_b32 s4, 0x3fffff
	v_lshrrev_b32_e32 v6, 23, v2
	v_and_b32_e32 v8, 0x400000, v2
	v_and_or_b32 v2, v2, s4, v3
	v_cmp_ne_u32_e32 vcc, 0, v8
	v_cmp_ne_u32_e64 s[4:5], 0, v2
	s_and_b64 s[4:5], vcc, s[4:5]
	v_cndmask_b32_e64 v2, 0, 1, s[4:5]
	v_add_u32_e32 v6, v6, v2
; %bb.893:
	s_or_b64 exec, exec, s[10:11]
	s_mov_b64 s[4:5], 0
	global_store_byte v[4:5], v6, off
.LBB11_894:
	s_mov_b64 s[10:11], 0
.LBB11_895:
	s_and_b64 vcc, exec, s[10:11]
	s_cbranch_vccz .LBB11_898
; %bb.896:
	v_cmp_eq_u16_e32 vcc, 29, v7
	s_mov_b64 s[4:5], -1
	s_cbranch_vccz .LBB11_898
; %bb.897:
	v_trunc_f64_e32 v[2:3], v[0:1]
	s_movk_i32 s4, 0xffe0
	v_ldexp_f64 v[8:9], v[2:3], s4
	v_floor_f64_e32 v[8:9], v[8:9]
	v_fmac_f64_e32 v[2:3], 0xc1f00000, v[8:9]
	v_cvt_u32_f64_e32 v11, v[8:9]
	v_cvt_u32_f64_e32 v10, v[2:3]
	global_store_dwordx2 v[4:5], v[10:11], off
	s_mov_b64 s[4:5], 0
.LBB11_898:
	s_mov_b64 s[10:11], 0
.LBB11_899:
	s_and_b64 vcc, exec, s[10:11]
	s_cbranch_vccz .LBB11_914
; %bb.900:
	v_cmp_gt_i16_e32 vcc, 27, v7
	s_mov_b64 s[10:11], -1
	s_cbranch_vccnz .LBB11_906
; %bb.901:
	v_cmp_lt_i16_e32 vcc, 27, v7
	v_cvt_u32_f64_e32 v2, v[0:1]
	s_cbranch_vccz .LBB11_903
; %bb.902:
	global_store_dword v[4:5], v2, off
	s_mov_b64 s[10:11], 0
.LBB11_903:
	s_andn2_b64 vcc, exec, s[10:11]
	s_cbranch_vccnz .LBB11_905
; %bb.904:
	global_store_short v[4:5], v2, off
.LBB11_905:
	s_mov_b64 s[10:11], 0
.LBB11_906:
	s_andn2_b64 vcc, exec, s[10:11]
	s_cbranch_vccnz .LBB11_914
; %bb.907:
	v_cvt_f32_f64_e32 v2, v[0:1]
	v_and_b32_e32 v3, 0x7fffffff, v2
	s_mov_b32 s10, 0x43800000
	v_cmp_gt_u32_e32 vcc, s10, v3
	v_mov_b32_e32 v6, 0x80
	s_and_saveexec_b64 s[10:11], vcc
	s_cbranch_execz .LBB11_913
; %bb.908:
	s_mov_b32 s12, 0x3bffffff
	v_cmp_lt_u32_e32 vcc, s12, v3
	s_mov_b64 s[12:13], 0
                                        ; implicit-def: $vgpr3
	s_and_saveexec_b64 s[14:15], vcc
	s_xor_b64 s[14:15], exec, s[14:15]
	s_cbranch_execz .LBB11_1125
; %bb.909:
	v_bfe_u32 v3, v2, 20, 1
	s_mov_b32 s16, 0x487ffff
	v_add3_u32 v3, v2, v3, s16
	s_mov_b64 s[12:13], exec
	v_lshrrev_b32_e32 v3, 20, v3
	s_or_saveexec_b64 s[14:15], s[14:15]
                                        ; implicit-def: $sgpr16
	s_xor_b64 exec, exec, s[14:15]
	s_cbranch_execnz .LBB11_1126
.LBB11_910:
	s_or_b64 exec, exec, s[14:15]
	v_mov_b32_e32 v6, s16
	s_and_saveexec_b64 s[14:15], s[12:13]
.LBB11_911:
	v_lshrrev_b32_e32 v2, 24, v2
	s_movk_i32 s12, 0x80
	v_and_or_b32 v6, v2, s12, v3
.LBB11_912:
	s_or_b64 exec, exec, s[14:15]
.LBB11_913:
	s_or_b64 exec, exec, s[10:11]
	global_store_byte v[4:5], v6, off
.LBB11_914:
	s_mov_b64 s[10:11], 0
.LBB11_915:
	s_and_b64 vcc, exec, s[10:11]
	s_cbranch_vccz .LBB11_955
; %bb.916:
	v_cmp_lt_i16_e32 vcc, 22, v7
	s_mov_b64 s[8:9], -1
	s_cbranch_vccz .LBB11_948
; %bb.917:
	v_cmp_gt_i16_e32 vcc, 24, v7
	s_cbranch_vccnz .LBB11_937
; %bb.918:
	v_cmp_lt_i16_e32 vcc, 24, v7
	s_cbranch_vccz .LBB11_926
; %bb.919:
	v_cvt_f32_f64_e32 v2, v[0:1]
	v_and_b32_e32 v3, 0x7fffffff, v2
	s_mov_b32 s8, 0x47800000
	v_cmp_gt_u32_e32 vcc, s8, v3
	v_mov_b32_e32 v6, 0x80
	s_and_saveexec_b64 s[8:9], vcc
	s_cbranch_execz .LBB11_925
; %bb.920:
	s_mov_b32 s10, 0x37ffffff
	v_cmp_lt_u32_e32 vcc, s10, v3
	s_mov_b64 s[10:11], 0
                                        ; implicit-def: $vgpr3
	s_and_saveexec_b64 s[12:13], vcc
	s_xor_b64 s[12:13], exec, s[12:13]
	s_cbranch_execz .LBB11_1134
; %bb.921:
	v_bfe_u32 v3, v2, 21, 1
	s_mov_b32 s14, 0x88fffff
	v_add3_u32 v3, v2, v3, s14
	s_mov_b64 s[10:11], exec
	v_lshrrev_b32_e32 v3, 21, v3
	s_or_saveexec_b64 s[12:13], s[12:13]
                                        ; implicit-def: $sgpr14
	s_xor_b64 exec, exec, s[12:13]
	s_cbranch_execnz .LBB11_1135
.LBB11_922:
	s_or_b64 exec, exec, s[12:13]
	v_mov_b32_e32 v6, s14
	s_and_saveexec_b64 s[12:13], s[10:11]
.LBB11_923:
	v_lshrrev_b32_e32 v2, 24, v2
	s_movk_i32 s10, 0x80
	v_and_or_b32 v6, v2, s10, v3
.LBB11_924:
	s_or_b64 exec, exec, s[12:13]
.LBB11_925:
	s_or_b64 exec, exec, s[8:9]
	s_mov_b64 s[8:9], 0
	global_store_byte v[4:5], v6, off
.LBB11_926:
	s_and_b64 vcc, exec, s[8:9]
	s_cbranch_vccz .LBB11_936
; %bb.927:
	v_cvt_f32_f64_e32 v2, v[0:1]
	v_and_b32_e32 v6, 0x7fffffff, v2
	s_mov_b32 s8, 0x43f00000
	v_cmp_gt_u32_e32 vcc, s8, v6
                                        ; implicit-def: $vgpr3
	s_and_saveexec_b64 s[8:9], vcc
	s_xor_b64 s[8:9], exec, s[8:9]
	s_cbranch_execz .LBB11_933
; %bb.928:
	s_mov_b32 s10, 0x3c7fffff
	v_cmp_lt_u32_e32 vcc, s10, v6
                                        ; implicit-def: $vgpr3
	s_and_saveexec_b64 s[10:11], vcc
	s_xor_b64 s[10:11], exec, s[10:11]
; %bb.929:
	v_bfe_u32 v3, v2, 20, 1
	s_mov_b32 s12, 0x407ffff
	v_add3_u32 v3, v2, v3, s12
	v_lshrrev_b32_e32 v6, 20, v3
	v_and_b32_e32 v3, 0xff00000, v3
	s_mov_b32 s12, 0x7f00000
	v_mov_b32_e32 v8, 0x7e
	v_cmp_ne_u32_e32 vcc, s12, v3
	v_cndmask_b32_e32 v3, v8, v6, vcc
; %bb.930:
	s_andn2_saveexec_b64 s[10:11], s[10:11]
; %bb.931:
	s_mov_b32 s12, 0x46800000
	v_add_f32_e64 v3, |v2|, s12
; %bb.932:
	s_or_b64 exec, exec, s[10:11]
                                        ; implicit-def: $vgpr6
.LBB11_933:
	s_andn2_saveexec_b64 s[8:9], s[8:9]
; %bb.934:
	s_mov_b32 s10, 0x7f800000
	v_mov_b32_e32 v3, 0x7e
	v_mov_b32_e32 v8, 0x7f
	v_cmp_lt_u32_e32 vcc, s10, v6
	v_cndmask_b32_e32 v3, v3, v8, vcc
; %bb.935:
	s_or_b64 exec, exec, s[8:9]
	v_lshrrev_b32_e32 v2, 24, v2
	s_movk_i32 s8, 0x80
	v_and_or_b32 v2, v2, s8, v3
	global_store_byte v[4:5], v2, off
.LBB11_936:
	s_mov_b64 s[8:9], 0
.LBB11_937:
	s_andn2_b64 vcc, exec, s[8:9]
	s_cbranch_vccnz .LBB11_947
; %bb.938:
	v_cvt_f32_f64_e32 v2, v[0:1]
	v_and_b32_e32 v6, 0x7fffffff, v2
	s_mov_b32 s8, 0x47800000
	v_cmp_gt_u32_e32 vcc, s8, v6
                                        ; implicit-def: $vgpr3
	s_and_saveexec_b64 s[8:9], vcc
	s_xor_b64 s[8:9], exec, s[8:9]
	s_cbranch_execz .LBB11_944
; %bb.939:
	s_mov_b32 s10, 0x387fffff
	v_cmp_lt_u32_e32 vcc, s10, v6
                                        ; implicit-def: $vgpr3
	s_and_saveexec_b64 s[10:11], vcc
	s_xor_b64 s[10:11], exec, s[10:11]
; %bb.940:
	v_bfe_u32 v3, v2, 21, 1
	s_mov_b32 s12, 0x80fffff
	v_add3_u32 v3, v2, v3, s12
	v_lshrrev_b32_e32 v3, 21, v3
; %bb.941:
	s_andn2_saveexec_b64 s[10:11], s[10:11]
; %bb.942:
	s_mov_b32 s12, 0x43000000
	v_add_f32_e64 v3, |v2|, s12
; %bb.943:
	s_or_b64 exec, exec, s[10:11]
                                        ; implicit-def: $vgpr6
.LBB11_944:
	s_andn2_saveexec_b64 s[8:9], s[8:9]
; %bb.945:
	s_mov_b32 s10, 0x7f800000
	v_mov_b32_e32 v3, 0x7c
	v_mov_b32_e32 v8, 0x7f
	v_cmp_lt_u32_e32 vcc, s10, v6
	v_cndmask_b32_e32 v3, v3, v8, vcc
; %bb.946:
	s_or_b64 exec, exec, s[8:9]
	v_lshrrev_b32_e32 v2, 24, v2
	s_movk_i32 s8, 0x80
	v_and_or_b32 v2, v2, s8, v3
	global_store_byte v[4:5], v2, off
.LBB11_947:
	s_mov_b64 s[8:9], 0
.LBB11_948:
	s_andn2_b64 vcc, exec, s[8:9]
	s_mov_b64 s[8:9], 0
	s_cbranch_vccnz .LBB11_955
; %bb.949:
	v_cmp_lt_i16_e32 vcc, 14, v7
	s_mov_b64 s[10:11], -1
	s_cbranch_vccz .LBB11_953
; %bb.950:
	v_cmp_eq_u16_e32 vcc, 15, v7
	s_mov_b64 s[4:5], -1
	s_cbranch_vccz .LBB11_952
; %bb.951:
	v_cvt_f32_f64_e32 v2, v[0:1]
	v_bfe_u32 v3, v2, 16, 1
	s_movk_i32 s4, 0x7fff
	v_add3_u32 v3, v2, v3, s4
	v_lshrrev_b32_e32 v3, 16, v3
	v_mov_b32_e32 v6, 0x7fc0
	v_cmp_o_f32_e32 vcc, v2, v2
	v_cndmask_b32_e32 v2, v6, v3, vcc
	global_store_short v[4:5], v2, off
	s_mov_b64 s[4:5], 0
.LBB11_952:
	s_mov_b64 s[10:11], 0
.LBB11_953:
	s_and_b64 vcc, exec, s[10:11]
	s_cbranch_vccz .LBB11_955
; %bb.954:
	v_cmp_ne_u16_e64 s[4:5], 11, v7
	s_mov_b64 s[8:9], -1
.LBB11_955:
	s_and_b64 vcc, exec, s[4:5]
	s_cbranch_vccnz .LBB11_1129
.LBB11_956:
	s_mov_b64 s[4:5], 0
	s_branch .LBB11_1076
.LBB11_957:
	s_mov_b64 s[8:9], 0
	s_mov_b64 s[4:5], -1
	s_branch .LBB11_1076
.LBB11_958:
	s_mov_b64 s[4:5], 0
	s_branch .LBB11_976
.LBB11_959:
	s_or_saveexec_b64 s[14:15], s[14:15]
                                        ; implicit-def: $sgpr17
	s_xor_b64 exec, exec, s[14:15]
	s_cbranch_execz .LBB11_784
.LBB11_960:
	s_mov_b32 s17, 0x46000000
	v_add_f32_e64 v5, |v4|, s17
	v_and_b32_e32 v5, 0xff, v5
	v_cmp_ne_u32_e32 vcc, 0, v5
	s_andn2_b64 s[12:13], s[12:13], exec
	s_and_b64 s[18:19], vcc, exec
	s_mov_b32 s17, 0
	s_or_b64 s[12:13], s[12:13], s[18:19]
	s_or_b64 exec, exec, s[14:15]
	v_mov_b32_e32 v6, s17
	s_and_saveexec_b64 s[14:15], s[12:13]
	s_cbranch_execnz .LBB11_785
	s_branch .LBB11_786
.LBB11_961:
	s_mov_b64 s[4:5], 0
	s_branch .LBB11_972
.LBB11_962:
	s_trap 2
	s_or_b64 s[6:7], s[6:7], exec
	s_cbranch_execz .LBB11_832
	s_branch .LBB11_833
.LBB11_963:
	s_or_saveexec_b64 s[12:13], s[12:13]
                                        ; implicit-def: $sgpr14
	s_xor_b64 exec, exec, s[12:13]
	s_cbranch_execz .LBB11_797
.LBB11_964:
	s_mov_b32 s14, 0x42800000
	v_add_f32_e64 v5, |v4|, s14
	v_and_b32_e32 v5, 0xff, v5
	v_cmp_ne_u32_e32 vcc, 0, v5
	s_andn2_b64 s[10:11], s[10:11], exec
	s_and_b64 s[18:19], vcc, exec
	s_mov_b32 s14, 0
	s_or_b64 s[10:11], s[10:11], s[18:19]
	s_or_b64 exec, exec, s[12:13]
	v_mov_b32_e32 v6, s14
	s_and_saveexec_b64 s[12:13], s[10:11]
	s_cbranch_execnz .LBB11_798
	s_branch .LBB11_799
.LBB11_965:
	s_mov_b64 s[4:5], 0
.LBB11_966:
	s_and_b64 vcc, exec, s[12:13]
	s_cbranch_vccz .LBB11_971
; %bb.967:
	v_mov_b32_e32 v4, 44
	v_cmp_eq_u16_sdwa s[12:13], s16, v4 src0_sel:BYTE_0 src1_sel:DWORD
	s_mov_b64 s[4:5], -1
	s_and_b64 vcc, exec, s[12:13]
	s_cbranch_vccz .LBB11_971
; %bb.968:
	v_cvt_f32_f64_e32 v4, v[38:39]
	v_bfe_u32 v5, v4, 23, 8
	s_movk_i32 s4, 0xff
	v_cmp_ne_u32_e32 vcc, s4, v5
	v_mov_b32_e32 v6, 0xff
	s_and_saveexec_b64 s[10:11], vcc
; %bb.969:
	s_mov_b32 s4, 0x3fffff
	v_lshrrev_b32_e32 v6, 23, v4
	v_and_b32_e32 v7, 0x400000, v4
	v_and_or_b32 v4, v4, s4, v5
	v_cmp_ne_u32_e32 vcc, 0, v7
	v_cmp_ne_u32_e64 s[4:5], 0, v4
	s_and_b64 s[4:5], vcc, s[4:5]
	v_cndmask_b32_e64 v4, 0, 1, s[4:5]
	v_add_u32_e32 v6, v6, v4
; %bb.970:
	s_or_b64 exec, exec, s[10:11]
	s_mov_b64 s[4:5], 0
	s_mov_b64 s[10:11], -1
	global_store_byte v[2:3], v6, off
.LBB11_971:
	s_mov_b64 s[12:13], 0
.LBB11_972:
	s_and_b64 vcc, exec, s[12:13]
	s_cbranch_vccz .LBB11_975
; %bb.973:
	v_mov_b32_e32 v4, 29
	v_cmp_eq_u16_sdwa s[12:13], s16, v4 src0_sel:BYTE_0 src1_sel:DWORD
	s_mov_b64 s[4:5], -1
	s_and_b64 vcc, exec, s[12:13]
	s_cbranch_vccz .LBB11_975
; %bb.974:
	v_trunc_f64_e32 v[4:5], v[38:39]
	s_movk_i32 s4, 0xffe0
	v_ldexp_f64 v[6:7], v[4:5], s4
	v_floor_f64_e32 v[6:7], v[6:7]
	v_fmac_f64_e32 v[4:5], 0xc1f00000, v[6:7]
	v_cvt_u32_f64_e32 v9, v[6:7]
	v_cvt_u32_f64_e32 v8, v[4:5]
	global_store_dwordx2 v[2:3], v[8:9], off
	s_mov_b64 s[4:5], 0
	s_mov_b64 s[10:11], -1
.LBB11_975:
	s_mov_b64 s[12:13], 0
.LBB11_976:
	s_and_b64 vcc, exec, s[12:13]
	s_cbranch_vccz .LBB11_992
; %bb.977:
	v_mov_b32_e32 v4, 27
	v_cmp_lt_i16_sdwa s[12:13], s16, v4 src0_sel:BYTE_0 src1_sel:DWORD
	s_mov_b64 s[10:11], -1
	s_and_b64 vcc, exec, s[12:13]
	s_cbranch_vccnz .LBB11_983
; %bb.978:
	v_cmp_gt_i16_sdwa s[12:13], s16, v4 src0_sel:BYTE_0 src1_sel:DWORD
	s_and_b64 vcc, exec, s[12:13]
	v_cvt_u32_f64_e32 v4, v[38:39]
	s_cbranch_vccz .LBB11_980
; %bb.979:
	s_mov_b64 s[10:11], 0
	global_store_dword v[2:3], v4, off
.LBB11_980:
	s_andn2_b64 vcc, exec, s[10:11]
	s_cbranch_vccnz .LBB11_982
; %bb.981:
	global_store_short v[2:3], v4, off
.LBB11_982:
	s_mov_b64 s[10:11], 0
.LBB11_983:
	s_andn2_b64 vcc, exec, s[10:11]
	s_cbranch_vccnz .LBB11_991
; %bb.984:
	v_cvt_f32_f64_e32 v4, v[38:39]
	v_and_b32_e32 v5, 0x7fffffff, v4
	s_mov_b32 s10, 0x43800000
	v_cmp_gt_u32_e32 vcc, s10, v5
	v_mov_b32_e32 v6, 0x80
	s_and_saveexec_b64 s[10:11], vcc
	s_cbranch_execz .LBB11_990
; %bb.985:
	s_mov_b32 s12, 0x3bffffff
	v_cmp_lt_u32_e32 vcc, s12, v5
	s_mov_b64 s[12:13], 0
                                        ; implicit-def: $vgpr5
	s_and_saveexec_b64 s[14:15], vcc
	s_xor_b64 s[14:15], exec, s[14:15]
	s_cbranch_execz .LBB11_1120
; %bb.986:
	v_bfe_u32 v5, v4, 20, 1
	s_mov_b32 s17, 0x487ffff
	v_add3_u32 v5, v4, v5, s17
	s_mov_b64 s[12:13], exec
	v_lshrrev_b32_e32 v5, 20, v5
	s_or_saveexec_b64 s[14:15], s[14:15]
                                        ; implicit-def: $sgpr17
	s_xor_b64 exec, exec, s[14:15]
	s_cbranch_execnz .LBB11_1121
.LBB11_987:
	s_or_b64 exec, exec, s[14:15]
	v_mov_b32_e32 v6, s17
	s_and_saveexec_b64 s[14:15], s[12:13]
.LBB11_988:
	v_lshrrev_b32_e32 v4, 24, v4
	s_movk_i32 s12, 0x80
	v_and_or_b32 v6, v4, s12, v5
.LBB11_989:
	s_or_b64 exec, exec, s[14:15]
.LBB11_990:
	s_or_b64 exec, exec, s[10:11]
	global_store_byte v[2:3], v6, off
.LBB11_991:
	s_mov_b64 s[10:11], -1
.LBB11_992:
	s_mov_b64 s[12:13], 0
.LBB11_993:
	s_and_b64 vcc, exec, s[12:13]
	s_cbranch_vccz .LBB11_1033
; %bb.994:
	v_mov_b32_e32 v4, 22
	v_cmp_gt_i16_sdwa s[12:13], s16, v4 src0_sel:BYTE_0 src1_sel:DWORD
	s_mov_b64 s[8:9], -1
	s_and_b64 vcc, exec, s[12:13]
	s_cbranch_vccz .LBB11_1026
; %bb.995:
	v_mov_b32_e32 v4, 24
	v_cmp_lt_i16_sdwa s[10:11], s16, v4 src0_sel:BYTE_0 src1_sel:DWORD
	s_and_b64 vcc, exec, s[10:11]
	s_cbranch_vccnz .LBB11_1015
; %bb.996:
	v_cmp_gt_i16_sdwa s[10:11], s16, v4 src0_sel:BYTE_0 src1_sel:DWORD
	s_and_b64 vcc, exec, s[10:11]
	s_cbranch_vccz .LBB11_1004
; %bb.997:
	v_cvt_f32_f64_e32 v4, v[38:39]
	v_and_b32_e32 v5, 0x7fffffff, v4
	s_mov_b32 s8, 0x47800000
	v_cmp_gt_u32_e32 vcc, s8, v5
	v_mov_b32_e32 v6, 0x80
	s_and_saveexec_b64 s[8:9], vcc
	s_cbranch_execz .LBB11_1003
; %bb.998:
	s_mov_b32 s10, 0x37ffffff
	v_cmp_lt_u32_e32 vcc, s10, v5
	s_mov_b64 s[10:11], 0
                                        ; implicit-def: $vgpr5
	s_and_saveexec_b64 s[12:13], vcc
	s_xor_b64 s[12:13], exec, s[12:13]
	s_cbranch_execz .LBB11_1127
; %bb.999:
	v_bfe_u32 v5, v4, 21, 1
	s_mov_b32 s14, 0x88fffff
	v_add3_u32 v5, v4, v5, s14
	s_mov_b64 s[10:11], exec
	v_lshrrev_b32_e32 v5, 21, v5
	s_or_saveexec_b64 s[12:13], s[12:13]
                                        ; implicit-def: $sgpr14
	s_xor_b64 exec, exec, s[12:13]
	s_cbranch_execnz .LBB11_1128
.LBB11_1000:
	s_or_b64 exec, exec, s[12:13]
	v_mov_b32_e32 v6, s14
	s_and_saveexec_b64 s[12:13], s[10:11]
.LBB11_1001:
	v_lshrrev_b32_e32 v4, 24, v4
	s_movk_i32 s10, 0x80
	v_and_or_b32 v6, v4, s10, v5
.LBB11_1002:
	s_or_b64 exec, exec, s[12:13]
.LBB11_1003:
	s_or_b64 exec, exec, s[8:9]
	s_mov_b64 s[8:9], 0
	global_store_byte v[2:3], v6, off
.LBB11_1004:
	s_and_b64 vcc, exec, s[8:9]
	s_cbranch_vccz .LBB11_1014
; %bb.1005:
	v_cvt_f32_f64_e32 v4, v[38:39]
	v_and_b32_e32 v6, 0x7fffffff, v4
	s_mov_b32 s8, 0x43f00000
	v_cmp_gt_u32_e32 vcc, s8, v6
                                        ; implicit-def: $vgpr5
	s_and_saveexec_b64 s[8:9], vcc
	s_xor_b64 s[8:9], exec, s[8:9]
	s_cbranch_execz .LBB11_1011
; %bb.1006:
	s_mov_b32 s10, 0x3c7fffff
	v_cmp_lt_u32_e32 vcc, s10, v6
                                        ; implicit-def: $vgpr5
	s_and_saveexec_b64 s[10:11], vcc
	s_xor_b64 s[10:11], exec, s[10:11]
; %bb.1007:
	v_bfe_u32 v5, v4, 20, 1
	s_mov_b32 s12, 0x407ffff
	v_add3_u32 v5, v4, v5, s12
	v_lshrrev_b32_e32 v6, 20, v5
	v_and_b32_e32 v5, 0xff00000, v5
	s_mov_b32 s12, 0x7f00000
	v_mov_b32_e32 v7, 0x7e
	v_cmp_ne_u32_e32 vcc, s12, v5
	v_cndmask_b32_e32 v5, v7, v6, vcc
; %bb.1008:
	s_andn2_saveexec_b64 s[10:11], s[10:11]
; %bb.1009:
	s_mov_b32 s12, 0x46800000
	v_add_f32_e64 v5, |v4|, s12
; %bb.1010:
	s_or_b64 exec, exec, s[10:11]
                                        ; implicit-def: $vgpr6
.LBB11_1011:
	s_andn2_saveexec_b64 s[8:9], s[8:9]
; %bb.1012:
	s_mov_b32 s10, 0x7f800000
	v_mov_b32_e32 v5, 0x7e
	v_mov_b32_e32 v7, 0x7f
	v_cmp_lt_u32_e32 vcc, s10, v6
	v_cndmask_b32_e32 v5, v5, v7, vcc
; %bb.1013:
	s_or_b64 exec, exec, s[8:9]
	v_lshrrev_b32_e32 v4, 24, v4
	s_movk_i32 s8, 0x80
	v_and_or_b32 v4, v4, s8, v5
	global_store_byte v[2:3], v4, off
.LBB11_1014:
	s_mov_b64 s[8:9], 0
.LBB11_1015:
	s_andn2_b64 vcc, exec, s[8:9]
	s_cbranch_vccnz .LBB11_1025
; %bb.1016:
	v_cvt_f32_f64_e32 v4, v[38:39]
	v_and_b32_e32 v6, 0x7fffffff, v4
	s_mov_b32 s8, 0x47800000
	v_cmp_gt_u32_e32 vcc, s8, v6
                                        ; implicit-def: $vgpr5
	s_and_saveexec_b64 s[8:9], vcc
	s_xor_b64 s[8:9], exec, s[8:9]
	s_cbranch_execz .LBB11_1022
; %bb.1017:
	s_mov_b32 s10, 0x387fffff
	v_cmp_lt_u32_e32 vcc, s10, v6
                                        ; implicit-def: $vgpr5
	s_and_saveexec_b64 s[10:11], vcc
	s_xor_b64 s[10:11], exec, s[10:11]
; %bb.1018:
	v_bfe_u32 v5, v4, 21, 1
	s_mov_b32 s12, 0x80fffff
	v_add3_u32 v5, v4, v5, s12
	v_lshrrev_b32_e32 v5, 21, v5
; %bb.1019:
	s_andn2_saveexec_b64 s[10:11], s[10:11]
; %bb.1020:
	s_mov_b32 s12, 0x43000000
	v_add_f32_e64 v5, |v4|, s12
; %bb.1021:
	s_or_b64 exec, exec, s[10:11]
                                        ; implicit-def: $vgpr6
.LBB11_1022:
	s_andn2_saveexec_b64 s[8:9], s[8:9]
; %bb.1023:
	s_mov_b32 s10, 0x7f800000
	v_mov_b32_e32 v5, 0x7c
	v_mov_b32_e32 v7, 0x7f
	v_cmp_lt_u32_e32 vcc, s10, v6
	v_cndmask_b32_e32 v5, v5, v7, vcc
; %bb.1024:
	s_or_b64 exec, exec, s[8:9]
	v_lshrrev_b32_e32 v4, 24, v4
	s_movk_i32 s8, 0x80
	v_and_or_b32 v4, v4, s8, v5
	global_store_byte v[2:3], v4, off
.LBB11_1025:
	s_mov_b64 s[8:9], 0
	s_mov_b64 s[10:11], -1
.LBB11_1026:
	s_andn2_b64 vcc, exec, s[8:9]
	s_mov_b64 s[8:9], 0
	s_cbranch_vccnz .LBB11_1033
; %bb.1027:
	v_mov_b32_e32 v4, 14
	v_cmp_gt_i16_sdwa s[8:9], s16, v4 src0_sel:BYTE_0 src1_sel:DWORD
	s_mov_b64 s[12:13], -1
	s_and_b64 vcc, exec, s[8:9]
	s_cbranch_vccz .LBB11_1031
; %bb.1028:
	v_mov_b32_e32 v4, 15
	v_cmp_eq_u16_sdwa s[8:9], s16, v4 src0_sel:BYTE_0 src1_sel:DWORD
	s_mov_b64 s[4:5], -1
	s_and_b64 vcc, exec, s[8:9]
	s_cbranch_vccz .LBB11_1030
; %bb.1029:
	v_cvt_f32_f64_e32 v4, v[38:39]
	v_bfe_u32 v5, v4, 16, 1
	s_movk_i32 s4, 0x7fff
	v_add3_u32 v5, v4, v5, s4
	v_lshrrev_b32_e32 v5, 16, v5
	v_mov_b32_e32 v6, 0x7fc0
	v_cmp_o_f32_e32 vcc, v4, v4
	v_cndmask_b32_e32 v4, v6, v5, vcc
	global_store_short v[2:3], v4, off
	s_mov_b64 s[4:5], 0
	s_mov_b64 s[10:11], -1
.LBB11_1030:
	s_mov_b64 s[12:13], 0
.LBB11_1031:
	s_mov_b64 s[8:9], 0
	s_and_b64 vcc, exec, s[12:13]
	s_cbranch_vccz .LBB11_1033
; %bb.1032:
	v_mov_b32_e32 v4, 11
	v_cmp_ne_u16_sdwa s[4:5], s16, v4 src0_sel:BYTE_0 src1_sel:DWORD
	s_mov_b64 s[8:9], -1
.LBB11_1033:
	s_and_b64 vcc, exec, s[4:5]
	s_cbranch_vccnz .LBB11_1122
; %bb.1034:
	s_andn2_b64 vcc, exec, s[8:9]
	s_cbranch_vccnz .LBB11_1036
.LBB11_1035:
	v_cmp_neq_f64_e32 vcc, 0, v[38:39]
	v_cndmask_b32_e64 v4, 0, 1, vcc
	s_mov_b64 s[10:11], -1
	global_store_byte v[2:3], v4, off
.LBB11_1036:
	s_branch .LBB11_880
.LBB11_1037:
	v_mov_b32_e32 v4, 5
	v_cmp_lt_i16_sdwa s[8:9], s16, v4 src0_sel:BYTE_0 src1_sel:DWORD
	s_mov_b64 s[4:5], -1
	s_and_b64 vcc, exec, s[8:9]
	s_cbranch_vccnz .LBB11_1058
; %bb.1038:
	v_mov_b32_e32 v4, 8
	v_cmp_lt_i16_sdwa s[8:9], s16, v4 src0_sel:BYTE_0 src1_sel:DWORD
	s_and_b64 vcc, exec, s[8:9]
	s_cbranch_vccnz .LBB11_1048
; %bb.1039:
	v_mov_b32_e32 v4, 9
	v_cmp_lt_i16_sdwa s[8:9], s16, v4 src0_sel:BYTE_0 src1_sel:DWORD
	s_and_b64 vcc, exec, s[8:9]
	s_cbranch_vccnz .LBB11_1045
; %bb.1040:
	v_cmp_gt_i16_sdwa s[8:9], s16, v4 src0_sel:BYTE_0 src1_sel:DWORD
	s_and_b64 vcc, exec, s[8:9]
	s_cbranch_vccz .LBB11_1042
; %bb.1041:
	v_mov_b32_e32 v40, 0
	v_mov_b32_e32 v41, v40
	global_store_dwordx4 v[2:3], v[38:41], off
	s_mov_b64 s[4:5], 0
.LBB11_1042:
	s_andn2_b64 vcc, exec, s[4:5]
	s_cbranch_vccnz .LBB11_1044
; %bb.1043:
	v_cvt_f32_f64_e32 v4, v[38:39]
	v_mov_b32_e32 v5, 0
	global_store_dwordx2 v[2:3], v[4:5], off
.LBB11_1044:
	s_mov_b64 s[4:5], 0
.LBB11_1045:
	s_andn2_b64 vcc, exec, s[4:5]
	s_cbranch_vccnz .LBB11_1047
; %bb.1046:
	v_cvt_f32_f64_e32 v4, v[38:39]
	v_cvt_f16_f32_e32 v4, v4
	global_store_dword v[2:3], v4, off
.LBB11_1047:
	s_mov_b64 s[4:5], 0
.LBB11_1048:
	s_andn2_b64 vcc, exec, s[4:5]
	s_cbranch_vccnz .LBB11_1057
; %bb.1049:
	v_mov_b32_e32 v4, 6
	v_cmp_lt_i16_sdwa s[8:9], s16, v4 src0_sel:BYTE_0 src1_sel:DWORD
	s_mov_b64 s[4:5], -1
	s_and_b64 vcc, exec, s[8:9]
	s_cbranch_vccnz .LBB11_1055
; %bb.1050:
	v_cmp_gt_i16_sdwa s[8:9], s16, v4 src0_sel:BYTE_0 src1_sel:DWORD
	s_and_b64 vcc, exec, s[8:9]
	s_cbranch_vccz .LBB11_1052
; %bb.1051:
	global_store_dwordx2 v[2:3], v[38:39], off
	s_mov_b64 s[4:5], 0
.LBB11_1052:
	s_andn2_b64 vcc, exec, s[4:5]
	s_cbranch_vccnz .LBB11_1054
; %bb.1053:
	v_cvt_f32_f64_e32 v4, v[38:39]
	global_store_dword v[2:3], v4, off
.LBB11_1054:
	s_mov_b64 s[4:5], 0
.LBB11_1055:
	s_andn2_b64 vcc, exec, s[4:5]
	s_cbranch_vccnz .LBB11_1057
; %bb.1056:
	v_cvt_f32_f64_e32 v4, v[38:39]
	v_cvt_f16_f32_e32 v4, v4
	global_store_short v[2:3], v4, off
.LBB11_1057:
	s_mov_b64 s[4:5], 0
.LBB11_1058:
	s_andn2_b64 vcc, exec, s[4:5]
	s_cbranch_vccnz .LBB11_1074
; %bb.1059:
	v_mov_b32_e32 v4, 2
	v_cmp_lt_i16_sdwa s[8:9], s16, v4 src0_sel:BYTE_0 src1_sel:DWORD
	s_mov_b64 s[4:5], -1
	s_and_b64 vcc, exec, s[8:9]
	s_cbranch_vccnz .LBB11_1069
; %bb.1060:
	v_mov_b32_e32 v4, 3
	v_cmp_lt_i16_sdwa s[8:9], s16, v4 src0_sel:BYTE_0 src1_sel:DWORD
	s_and_b64 vcc, exec, s[8:9]
	s_cbranch_vccnz .LBB11_1066
; %bb.1061:
	v_cmp_gt_i16_sdwa s[8:9], s16, v4 src0_sel:BYTE_0 src1_sel:DWORD
	s_and_b64 vcc, exec, s[8:9]
	s_cbranch_vccz .LBB11_1063
; %bb.1062:
	v_trunc_f64_e32 v[4:5], v[38:39]
	s_movk_i32 s4, 0xffe0
	v_ldexp_f64 v[6:7], v[4:5], s4
	v_floor_f64_e32 v[6:7], v[6:7]
	v_fmac_f64_e32 v[4:5], 0xc1f00000, v[6:7]
	v_cvt_i32_f64_e32 v9, v[6:7]
	v_cvt_u32_f64_e32 v8, v[4:5]
	global_store_dwordx2 v[2:3], v[8:9], off
	s_mov_b64 s[4:5], 0
.LBB11_1063:
	s_andn2_b64 vcc, exec, s[4:5]
	s_cbranch_vccnz .LBB11_1065
; %bb.1064:
	v_cvt_i32_f64_e32 v4, v[38:39]
	global_store_dword v[2:3], v4, off
.LBB11_1065:
	s_mov_b64 s[4:5], 0
.LBB11_1066:
	s_andn2_b64 vcc, exec, s[4:5]
	s_cbranch_vccnz .LBB11_1068
; %bb.1067:
	v_cvt_i32_f64_e32 v4, v[38:39]
	global_store_short v[2:3], v4, off
.LBB11_1068:
	s_mov_b64 s[4:5], 0
.LBB11_1069:
	s_andn2_b64 vcc, exec, s[4:5]
	s_cbranch_vccnz .LBB11_1074
; %bb.1070:
	v_mov_b32_e32 v4, 0
	v_cmp_gt_i16_sdwa s[8:9], s16, v4 src0_sel:BYTE_0 src1_sel:DWORD
	s_mov_b64 s[4:5], -1
	s_and_b64 vcc, exec, s[8:9]
	s_cbranch_vccz .LBB11_1072
; %bb.1071:
	v_cvt_i32_f64_e32 v4, v[38:39]
	global_store_byte v[2:3], v4, off
	s_mov_b64 s[4:5], 0
.LBB11_1072:
	s_andn2_b64 vcc, exec, s[4:5]
	s_cbranch_vccnz .LBB11_1074
; %bb.1073:
	v_trunc_f64_e32 v[4:5], v[38:39]
	s_movk_i32 s4, 0xffe0
	v_ldexp_f64 v[6:7], v[4:5], s4
	v_floor_f64_e32 v[6:7], v[6:7]
	v_fmac_f64_e32 v[4:5], 0xc1f00000, v[6:7]
	v_cvt_u32_f64_e32 v4, v[4:5]
	global_store_byte v[2:3], v4, off
.LBB11_1074:
	s_branch .LBB11_881
.LBB11_1075:
	s_mov_b64 s[4:5], 0
	s_mov_b64 s[8:9], 0
                                        ; implicit-def: $vgpr7
                                        ; implicit-def: $vgpr4_vgpr5
.LBB11_1076:
	s_and_b64 s[54:55], s[8:9], exec
	s_andn2_b64 s[8:9], s[44:45], exec
	s_and_b64 s[6:7], s[6:7], exec
	s_and_b64 s[4:5], s[4:5], exec
	s_or_b64 s[44:45], s[8:9], s[6:7]
.LBB11_1077:
	s_or_b64 exec, exec, s[46:47]
	s_and_saveexec_b64 s[6:7], s[44:45]
	s_cbranch_execz .LBB11_1080
; %bb.1078:
	; divergent unreachable
	s_or_b64 exec, exec, s[6:7]
	s_and_saveexec_b64 s[6:7], s[54:55]
	s_xor_b64 s[6:7], exec, s[6:7]
	s_cbranch_execnz .LBB11_1081
.LBB11_1079:
	s_or_b64 exec, exec, s[6:7]
	s_and_saveexec_b64 s[6:7], s[4:5]
	s_cbranch_execnz .LBB11_1082
	s_branch .LBB11_1119
.LBB11_1080:
	s_or_b64 exec, exec, s[6:7]
	s_and_saveexec_b64 s[6:7], s[54:55]
	s_xor_b64 s[6:7], exec, s[6:7]
	s_cbranch_execz .LBB11_1079
.LBB11_1081:
	v_cmp_neq_f64_e32 vcc, 0, v[0:1]
	v_cndmask_b32_e64 v2, 0, 1, vcc
	global_store_byte v[4:5], v2, off
	s_or_b64 exec, exec, s[6:7]
	s_and_saveexec_b64 s[6:7], s[4:5]
	s_cbranch_execz .LBB11_1119
.LBB11_1082:
	v_cmp_gt_i16_e32 vcc, 5, v7
	s_mov_b64 s[4:5], -1
	s_cbranch_vccnz .LBB11_1103
; %bb.1083:
	v_cmp_gt_i16_e32 vcc, 8, v7
	s_cbranch_vccnz .LBB11_1093
; %bb.1084:
	v_cmp_gt_i16_e32 vcc, 9, v7
	s_cbranch_vccnz .LBB11_1090
; %bb.1085:
	v_cmp_lt_i16_e32 vcc, 9, v7
	s_cbranch_vccz .LBB11_1087
; %bb.1086:
	v_mov_b32_e32 v2, 0
	v_mov_b32_e32 v3, v2
	global_store_dwordx4 v[4:5], v[0:3], off
	s_mov_b64 s[4:5], 0
.LBB11_1087:
	s_andn2_b64 vcc, exec, s[4:5]
	s_cbranch_vccnz .LBB11_1089
; %bb.1088:
	v_cvt_f32_f64_e32 v2, v[0:1]
	v_mov_b32_e32 v3, 0
	global_store_dwordx2 v[4:5], v[2:3], off
.LBB11_1089:
	s_mov_b64 s[4:5], 0
.LBB11_1090:
	s_andn2_b64 vcc, exec, s[4:5]
	s_cbranch_vccnz .LBB11_1092
; %bb.1091:
	v_cvt_f32_f64_e32 v2, v[0:1]
	v_cvt_f16_f32_e32 v2, v2
	global_store_dword v[4:5], v2, off
.LBB11_1092:
	s_mov_b64 s[4:5], 0
.LBB11_1093:
	s_andn2_b64 vcc, exec, s[4:5]
	s_cbranch_vccnz .LBB11_1102
; %bb.1094:
	v_cmp_gt_i16_e32 vcc, 6, v7
	s_mov_b64 s[4:5], -1
	s_cbranch_vccnz .LBB11_1100
; %bb.1095:
	v_cmp_lt_i16_e32 vcc, 6, v7
	s_cbranch_vccz .LBB11_1097
; %bb.1096:
	global_store_dwordx2 v[4:5], v[0:1], off
	s_mov_b64 s[4:5], 0
.LBB11_1097:
	s_andn2_b64 vcc, exec, s[4:5]
	s_cbranch_vccnz .LBB11_1099
; %bb.1098:
	v_cvt_f32_f64_e32 v2, v[0:1]
	global_store_dword v[4:5], v2, off
.LBB11_1099:
	s_mov_b64 s[4:5], 0
.LBB11_1100:
	s_andn2_b64 vcc, exec, s[4:5]
	s_cbranch_vccnz .LBB11_1102
; %bb.1101:
	v_cvt_f32_f64_e32 v2, v[0:1]
	v_cvt_f16_f32_e32 v2, v2
	global_store_short v[4:5], v2, off
.LBB11_1102:
	s_mov_b64 s[4:5], 0
.LBB11_1103:
	s_andn2_b64 vcc, exec, s[4:5]
	s_cbranch_vccnz .LBB11_1119
; %bb.1104:
	v_cmp_gt_i16_e32 vcc, 2, v7
	s_mov_b64 s[4:5], -1
	s_cbranch_vccnz .LBB11_1114
; %bb.1105:
	v_cmp_gt_i16_e32 vcc, 3, v7
	s_cbranch_vccnz .LBB11_1111
; %bb.1106:
	v_cmp_lt_i16_e32 vcc, 3, v7
	s_cbranch_vccz .LBB11_1108
; %bb.1107:
	v_trunc_f64_e32 v[2:3], v[0:1]
	s_movk_i32 s4, 0xffe0
	v_ldexp_f64 v[8:9], v[2:3], s4
	v_floor_f64_e32 v[8:9], v[8:9]
	v_fmac_f64_e32 v[2:3], 0xc1f00000, v[8:9]
	v_cvt_i32_f64_e32 v11, v[8:9]
	v_cvt_u32_f64_e32 v10, v[2:3]
	global_store_dwordx2 v[4:5], v[10:11], off
	s_mov_b64 s[4:5], 0
.LBB11_1108:
	s_andn2_b64 vcc, exec, s[4:5]
	s_cbranch_vccnz .LBB11_1110
; %bb.1109:
	v_cvt_i32_f64_e32 v2, v[0:1]
	global_store_dword v[4:5], v2, off
.LBB11_1110:
	s_mov_b64 s[4:5], 0
.LBB11_1111:
	s_andn2_b64 vcc, exec, s[4:5]
	s_cbranch_vccnz .LBB11_1113
; %bb.1112:
	v_cvt_i32_f64_e32 v2, v[0:1]
	global_store_short v[4:5], v2, off
.LBB11_1113:
	s_mov_b64 s[4:5], 0
.LBB11_1114:
	s_andn2_b64 vcc, exec, s[4:5]
	s_cbranch_vccnz .LBB11_1119
; %bb.1115:
	v_cmp_lt_i16_e32 vcc, 0, v7
	s_mov_b64 s[4:5], -1
	s_cbranch_vccz .LBB11_1117
; %bb.1116:
	v_cvt_i32_f64_e32 v2, v[0:1]
	global_store_byte v[4:5], v2, off
	s_mov_b64 s[4:5], 0
.LBB11_1117:
	s_andn2_b64 vcc, exec, s[4:5]
	s_cbranch_vccnz .LBB11_1119
; %bb.1118:
	v_trunc_f64_e32 v[0:1], v[0:1]
	s_movk_i32 s4, 0xffe0
	v_ldexp_f64 v[2:3], v[0:1], s4
	v_floor_f64_e32 v[2:3], v[2:3]
	v_fmac_f64_e32 v[0:1], 0xc1f00000, v[2:3]
	v_cvt_u32_f64_e32 v0, v[0:1]
	global_store_byte v[4:5], v0, off
	s_endpgm
.LBB11_1119:
	s_endpgm
.LBB11_1120:
	s_or_saveexec_b64 s[14:15], s[14:15]
                                        ; implicit-def: $sgpr17
	s_xor_b64 exec, exec, s[14:15]
	s_cbranch_execz .LBB11_987
.LBB11_1121:
	s_mov_b32 s17, 0x46000000
	v_add_f32_e64 v5, |v4|, s17
	v_and_b32_e32 v5, 0xff, v5
	v_cmp_ne_u32_e32 vcc, 0, v5
	s_andn2_b64 s[12:13], s[12:13], exec
	s_and_b64 s[18:19], vcc, exec
	s_mov_b32 s17, 0
	s_or_b64 s[12:13], s[12:13], s[18:19]
	s_or_b64 exec, exec, s[14:15]
	v_mov_b32_e32 v6, s17
	s_and_saveexec_b64 s[14:15], s[12:13]
	s_cbranch_execnz .LBB11_988
	s_branch .LBB11_989
.LBB11_1122:
	s_trap 2
	s_or_b64 s[6:7], s[6:7], exec
	s_cbranch_execz .LBB11_1035
	s_branch .LBB11_1036
.LBB11_1123:
	s_or_saveexec_b64 s[10:11], s[10:11]
                                        ; implicit-def: $sgpr12
	s_xor_b64 exec, exec, s[10:11]
	s_cbranch_execz .LBB11_341
.LBB11_1124:
	s_mov_b32 s12, 0x46000000
	v_add_f32_e64 v3, |v2|, s12
	v_and_b32_e32 v3, 0xff, v3
	v_cmp_ne_u32_e32 vcc, 0, v3
	s_andn2_b64 s[8:9], s[8:9], exec
	s_and_b64 s[14:15], vcc, exec
	s_mov_b32 s12, 0
	s_or_b64 s[8:9], s[8:9], s[14:15]
	s_or_b64 exec, exec, s[10:11]
	v_mov_b32_e32 v6, s12
	s_and_saveexec_b64 s[10:11], s[8:9]
	s_cbranch_execnz .LBB11_342
	s_branch .LBB11_343
.LBB11_1125:
	s_or_saveexec_b64 s[14:15], s[14:15]
                                        ; implicit-def: $sgpr16
	s_xor_b64 exec, exec, s[14:15]
	s_cbranch_execz .LBB11_910
.LBB11_1126:
	s_mov_b32 s16, 0x46000000
	v_add_f32_e64 v3, |v2|, s16
	v_and_b32_e32 v3, 0xff, v3
	v_cmp_ne_u32_e32 vcc, 0, v3
	s_andn2_b64 s[12:13], s[12:13], exec
	s_and_b64 s[18:19], vcc, exec
	s_mov_b32 s16, 0
	s_or_b64 s[12:13], s[12:13], s[18:19]
	s_or_b64 exec, exec, s[14:15]
	v_mov_b32_e32 v6, s16
	s_and_saveexec_b64 s[14:15], s[12:13]
	s_cbranch_execnz .LBB11_911
	s_branch .LBB11_912
.LBB11_1127:
	s_or_saveexec_b64 s[12:13], s[12:13]
                                        ; implicit-def: $sgpr14
	s_xor_b64 exec, exec, s[12:13]
	s_cbranch_execz .LBB11_1000
.LBB11_1128:
	s_mov_b32 s14, 0x42800000
	v_add_f32_e64 v5, |v4|, s14
	v_and_b32_e32 v5, 0xff, v5
	v_cmp_ne_u32_e32 vcc, 0, v5
	s_andn2_b64 s[10:11], s[10:11], exec
	s_and_b64 s[18:19], vcc, exec
	s_mov_b32 s14, 0
	s_or_b64 s[10:11], s[10:11], s[18:19]
	s_or_b64 exec, exec, s[12:13]
	v_mov_b32_e32 v6, s14
	s_and_saveexec_b64 s[12:13], s[10:11]
	s_cbranch_execnz .LBB11_1001
	s_branch .LBB11_1002
.LBB11_1129:
	s_mov_b64 s[8:9], 0
	s_or_b64 s[6:7], s[6:7], exec
	s_trap 2
	s_branch .LBB11_956
.LBB11_1130:
	s_or_saveexec_b64 s[10:11], s[10:11]
                                        ; implicit-def: $sgpr12
	s_xor_b64 exec, exec, s[10:11]
	s_cbranch_execz .LBB11_354
.LBB11_1131:
	s_mov_b32 s12, 0x42800000
	v_add_f32_e64 v3, |v2|, s12
	v_and_b32_e32 v3, 0xff, v3
	v_cmp_ne_u32_e32 vcc, 0, v3
	s_andn2_b64 s[8:9], s[8:9], exec
	s_and_b64 s[14:15], vcc, exec
	s_mov_b32 s12, 0
	s_or_b64 s[8:9], s[8:9], s[14:15]
	s_or_b64 exec, exec, s[10:11]
	v_mov_b32_e32 v6, s12
	s_and_saveexec_b64 s[10:11], s[8:9]
	s_cbranch_execnz .LBB11_355
	s_branch .LBB11_356
.LBB11_1132:
	s_or_saveexec_b64 s[10:11], s[10:11]
                                        ; implicit-def: $sgpr12
	s_xor_b64 exec, exec, s[10:11]
	s_cbranch_execz .LBB11_479
.LBB11_1133:
	s_mov_b32 s12, 0x46000000
	v_add_f32_e64 v3, |v2|, s12
	v_and_b32_e32 v3, 0xff, v3
	v_cmp_ne_u32_e32 vcc, 0, v3
	s_andn2_b64 s[8:9], s[8:9], exec
	s_and_b64 s[14:15], vcc, exec
	s_mov_b32 s12, 0
	s_or_b64 s[8:9], s[8:9], s[14:15]
	s_or_b64 exec, exec, s[10:11]
	v_mov_b32_e32 v7, s12
	s_and_saveexec_b64 s[10:11], s[8:9]
	s_cbranch_execnz .LBB11_480
	s_branch .LBB11_481
.LBB11_1134:
	s_or_saveexec_b64 s[12:13], s[12:13]
                                        ; implicit-def: $sgpr14
	s_xor_b64 exec, exec, s[12:13]
	s_cbranch_execz .LBB11_922
.LBB11_1135:
	s_mov_b32 s14, 0x42800000
	v_add_f32_e64 v3, |v2|, s14
	v_and_b32_e32 v3, 0xff, v3
	v_cmp_ne_u32_e32 vcc, 0, v3
	s_andn2_b64 s[10:11], s[10:11], exec
	s_and_b64 s[16:17], vcc, exec
	s_mov_b32 s14, 0
	s_or_b64 s[10:11], s[10:11], s[16:17]
	s_or_b64 exec, exec, s[12:13]
	v_mov_b32_e32 v6, s14
	s_and_saveexec_b64 s[12:13], s[10:11]
	s_cbranch_execnz .LBB11_923
	s_branch .LBB11_924
.LBB11_1136:
	s_or_saveexec_b64 s[12:13], s[12:13]
                                        ; implicit-def: $sgpr14
	s_xor_b64 exec, exec, s[12:13]
	s_cbranch_execz .LBB11_491
.LBB11_1137:
	s_mov_b32 s14, 0x42800000
	v_add_f32_e64 v3, |v2|, s14
	v_and_b32_e32 v3, 0xff, v3
	v_cmp_ne_u32_e32 vcc, 0, v3
	s_andn2_b64 s[10:11], s[10:11], exec
	s_and_b64 s[16:17], vcc, exec
	s_mov_b32 s14, 0
	s_or_b64 s[10:11], s[10:11], s[16:17]
	s_or_b64 exec, exec, s[12:13]
	v_mov_b32_e32 v7, s14
	s_and_saveexec_b64 s[12:13], s[10:11]
	s_cbranch_execnz .LBB11_492
	s_branch .LBB11_493
	.section	.rodata,"a",@progbits
	.p2align	6, 0x0
	.amdhsa_kernel _ZN2at6native32elementwise_kernel_manual_unrollILi128ELi4EZNS0_15gpu_kernel_implIZZZNS0_12_GLOBAL__N_119airy_ai_kernel_cudaERNS_18TensorIteratorBaseEENKUlvE_clEvENKUlvE_clEvEUldE_EEvS5_RKT_EUlibE0_EEviT1_
		.amdhsa_group_segment_fixed_size 0
		.amdhsa_private_segment_fixed_size 8
		.amdhsa_kernarg_size 360
		.amdhsa_user_sgpr_count 8
		.amdhsa_user_sgpr_private_segment_buffer 1
		.amdhsa_user_sgpr_dispatch_ptr 0
		.amdhsa_user_sgpr_queue_ptr 0
		.amdhsa_user_sgpr_kernarg_segment_ptr 1
		.amdhsa_user_sgpr_dispatch_id 0
		.amdhsa_user_sgpr_flat_scratch_init 1
		.amdhsa_user_sgpr_kernarg_preload_length 0
		.amdhsa_user_sgpr_kernarg_preload_offset 0
		.amdhsa_user_sgpr_private_segment_size 0
		.amdhsa_uses_dynamic_stack 0
		.amdhsa_system_sgpr_private_segment_wavefront_offset 1
		.amdhsa_system_sgpr_workgroup_id_x 1
		.amdhsa_system_sgpr_workgroup_id_y 0
		.amdhsa_system_sgpr_workgroup_id_z 0
		.amdhsa_system_sgpr_workgroup_info 0
		.amdhsa_system_vgpr_workitem_id 0
		.amdhsa_next_free_vgpr 56
		.amdhsa_next_free_sgpr 84
		.amdhsa_accum_offset 56
		.amdhsa_reserve_vcc 1
		.amdhsa_reserve_flat_scratch 1
		.amdhsa_float_round_mode_32 0
		.amdhsa_float_round_mode_16_64 0
		.amdhsa_float_denorm_mode_32 3
		.amdhsa_float_denorm_mode_16_64 3
		.amdhsa_dx10_clamp 1
		.amdhsa_ieee_mode 1
		.amdhsa_fp16_overflow 0
		.amdhsa_tg_split 0
		.amdhsa_exception_fp_ieee_invalid_op 0
		.amdhsa_exception_fp_denorm_src 0
		.amdhsa_exception_fp_ieee_div_zero 0
		.amdhsa_exception_fp_ieee_overflow 0
		.amdhsa_exception_fp_ieee_underflow 0
		.amdhsa_exception_fp_ieee_inexact 0
		.amdhsa_exception_int_div_zero 0
	.end_amdhsa_kernel
	.section	.text._ZN2at6native32elementwise_kernel_manual_unrollILi128ELi4EZNS0_15gpu_kernel_implIZZZNS0_12_GLOBAL__N_119airy_ai_kernel_cudaERNS_18TensorIteratorBaseEENKUlvE_clEvENKUlvE_clEvEUldE_EEvS5_RKT_EUlibE0_EEviT1_,"axG",@progbits,_ZN2at6native32elementwise_kernel_manual_unrollILi128ELi4EZNS0_15gpu_kernel_implIZZZNS0_12_GLOBAL__N_119airy_ai_kernel_cudaERNS_18TensorIteratorBaseEENKUlvE_clEvENKUlvE_clEvEUldE_EEvS5_RKT_EUlibE0_EEviT1_,comdat
.Lfunc_end11:
	.size	_ZN2at6native32elementwise_kernel_manual_unrollILi128ELi4EZNS0_15gpu_kernel_implIZZZNS0_12_GLOBAL__N_119airy_ai_kernel_cudaERNS_18TensorIteratorBaseEENKUlvE_clEvENKUlvE_clEvEUldE_EEvS5_RKT_EUlibE0_EEviT1_, .Lfunc_end11-_ZN2at6native32elementwise_kernel_manual_unrollILi128ELi4EZNS0_15gpu_kernel_implIZZZNS0_12_GLOBAL__N_119airy_ai_kernel_cudaERNS_18TensorIteratorBaseEENKUlvE_clEvENKUlvE_clEvEUldE_EEvS5_RKT_EUlibE0_EEviT1_
                                        ; -- End function
	.section	.AMDGPU.csdata,"",@progbits
; Kernel info:
; codeLenInByte = 23964
; NumSgprs: 90
; NumVgprs: 56
; NumAgprs: 0
; TotalNumVgprs: 56
; ScratchSize: 8
; MemoryBound: 0
; FloatMode: 240
; IeeeMode: 1
; LDSByteSize: 0 bytes/workgroup (compile time only)
; SGPRBlocks: 11
; VGPRBlocks: 6
; NumSGPRsForWavesPerEU: 90
; NumVGPRsForWavesPerEU: 56
; AccumOffset: 56
; Occupancy: 8
; WaveLimiterHint : 1
; COMPUTE_PGM_RSRC2:SCRATCH_EN: 1
; COMPUTE_PGM_RSRC2:USER_SGPR: 8
; COMPUTE_PGM_RSRC2:TRAP_HANDLER: 0
; COMPUTE_PGM_RSRC2:TGID_X_EN: 1
; COMPUTE_PGM_RSRC2:TGID_Y_EN: 0
; COMPUTE_PGM_RSRC2:TGID_Z_EN: 0
; COMPUTE_PGM_RSRC2:TIDIG_COMP_CNT: 0
; COMPUTE_PGM_RSRC3_GFX90A:ACCUM_OFFSET: 13
; COMPUTE_PGM_RSRC3_GFX90A:TG_SPLIT: 0
	.text
	.p2align	2                               ; -- Begin function _ZN2at6native25elementwise_kernel_helperILb0EZZZNS0_12_GLOBAL__N_119airy_ai_kernel_cudaERNS_18TensorIteratorBaseEENKUlvE_clEvENKUlvE0_clEvEUlfE_NS0_6memory8policies11unroll_baseILi256ESt5arrayIPcLm2EE23TrivialOffsetCalculatorILi1EjESF_NS8_15LoadWithoutCastENS8_16StoreWithoutCastELi4ELi1EEEEEvT0_T1_
	.type	_ZN2at6native25elementwise_kernel_helperILb0EZZZNS0_12_GLOBAL__N_119airy_ai_kernel_cudaERNS_18TensorIteratorBaseEENKUlvE_clEvENKUlvE0_clEvEUlfE_NS0_6memory8policies11unroll_baseILi256ESt5arrayIPcLm2EE23TrivialOffsetCalculatorILi1EjESF_NS8_15LoadWithoutCastENS8_16StoreWithoutCastELi4ELi1EEEEEvT0_T1_,@function
_ZN2at6native25elementwise_kernel_helperILb0EZZZNS0_12_GLOBAL__N_119airy_ai_kernel_cudaERNS_18TensorIteratorBaseEENKUlvE_clEvENKUlvE0_clEvEUlfE_NS0_6memory8policies11unroll_baseILi256ESt5arrayIPcLm2EE23TrivialOffsetCalculatorILi1EjESF_NS8_15LoadWithoutCastENS8_16StoreWithoutCastELi4ELi1EEEEEvT0_T1_: ; @_ZN2at6native25elementwise_kernel_helperILb0EZZZNS0_12_GLOBAL__N_119airy_ai_kernel_cudaERNS_18TensorIteratorBaseEENKUlvE_clEvENKUlvE0_clEvEUlfE_NS0_6memory8policies11unroll_baseILi256ESt5arrayIPcLm2EE23TrivialOffsetCalculatorILi1EjESF_NS8_15LoadWithoutCastENS8_16StoreWithoutCastELi4ELi1EEEEEvT0_T1_
; %bb.0:
	s_waitcnt vmcnt(0) expcnt(0) lgkmcnt(0)
	v_and_b32_e32 v5, 0x3ff, v31
	s_lshl_b32 s24, s12, 10
	v_cmp_lt_i32_e64 s[4:5], v5, v4
	v_mov_b32_e32 v17, 0
	v_or_b32_e32 v10, s24, v5
	v_mov_b32_e32 v19, 0
	v_mov_b32_e32 v6, v5
	s_and_saveexec_b64 s[6:7], s[4:5]
	s_cbranch_execz .LBB12_2
; %bb.1:
	v_mov_b32_e32 v11, 0
	v_lshlrev_b64 v[6:7], 2, v[10:11]
	v_add_co_u32_e32 v6, vcc, v2, v6
	v_addc_co_u32_e32 v7, vcc, v3, v7, vcc
	flat_load_dword v19, v[6:7]
	v_add_u32_e32 v6, 0x100, v5
.LBB12_2:
	s_or_b64 exec, exec, s[6:7]
	v_cmp_lt_i32_e32 vcc, v6, v4
	s_and_saveexec_b64 s[6:7], vcc
	s_cbranch_execz .LBB12_4
; %bb.3:
	v_add_u32_e32 v8, s24, v6
	v_mov_b32_e32 v9, 0
	v_lshlrev_b64 v[8:9], 2, v[8:9]
	v_add_co_u32_e32 v8, vcc, v2, v8
	v_addc_co_u32_e32 v9, vcc, v3, v9, vcc
	flat_load_dword v17, v[8:9]
	v_add_u32_e32 v6, 0x100, v6
.LBB12_4:
	s_or_b64 exec, exec, s[6:7]
	v_cmp_lt_i32_e32 vcc, v6, v4
	v_mov_b32_e32 v13, 0
	v_mov_b32_e32 v15, 0
	s_and_saveexec_b64 s[6:7], vcc
	s_cbranch_execz .LBB12_7
; %bb.5:
	v_add_u32_e32 v8, s24, v6
	v_mov_b32_e32 v9, 0
	v_lshlrev_b64 v[8:9], 2, v[8:9]
	v_add_co_u32_e32 v8, vcc, v2, v8
	v_addc_co_u32_e32 v9, vcc, v3, v9, vcc
	flat_load_dword v15, v[8:9]
	v_add_u32_e32 v6, 0x100, v6
	s_or_b64 exec, exec, s[6:7]
	v_cmp_lt_i32_e32 vcc, v6, v4
	s_and_saveexec_b64 s[6:7], vcc
	s_cbranch_execnz .LBB12_8
.LBB12_6:
	s_or_b64 exec, exec, s[6:7]
                                        ; implicit-def: $vgpr6_vgpr7_vgpr8_vgpr9
	s_and_saveexec_b64 s[12:13], s[4:5]
	s_cbranch_execnz .LBB12_9
	s_branch .LBB12_32
.LBB12_7:
	s_or_b64 exec, exec, s[6:7]
	v_cmp_lt_i32_e32 vcc, v6, v4
	s_and_saveexec_b64 s[6:7], vcc
	s_cbranch_execz .LBB12_6
.LBB12_8:
	v_add_u32_e32 v6, s24, v6
	v_mov_b32_e32 v7, 0
	v_lshlrev_b64 v[6:7], 2, v[6:7]
	v_add_co_u32_e32 v2, vcc, v2, v6
	v_addc_co_u32_e32 v3, vcc, v3, v7, vcc
	flat_load_dword v13, v[2:3]
	s_or_b64 exec, exec, s[6:7]
                                        ; implicit-def: $vgpr6_vgpr7_vgpr8_vgpr9
	s_and_saveexec_b64 s[12:13], s[4:5]
	s_cbranch_execz .LBB12_32
.LBB12_9:
	s_mov_b32 s6, 0x7f800000
	s_waitcnt vmcnt(0) lgkmcnt(0)
	v_cmp_neq_f32_e64 s[6:7], |v19|, s6
	v_mov_b32_e32 v6, 0x7fc00000
	s_and_saveexec_b64 s[14:15], s[6:7]
	s_cbranch_execz .LBB12_31
; %bb.10:
	s_mov_b32 s6, 0x42cfc8b4
	v_cmp_nlt_f32_e32 vcc, s6, v19
	v_mov_b32_e32 v6, 0
	s_and_saveexec_b64 s[16:17], vcc
	s_cbranch_execz .LBB12_30
; %bb.11:
	s_mov_b32 s6, 0xc005c28f
	v_cmp_ngt_f32_e32 vcc, s6, v19
                                        ; implicit-def: $vgpr6
	s_and_saveexec_b64 s[6:7], vcc
	s_xor_b64 s[8:9], exec, s[6:7]
	s_cbranch_execz .LBB12_19
; %bb.12:
	s_mov_b32 s6, 0x4005c28f
	v_cmp_nle_f32_e64 s[10:11], s6, v19
	v_cmp_le_f32_e32 vcc, s6, v19
	v_mov_b32_e32 v6, 0
	s_mov_b64 s[6:7], s[10:11]
	s_and_saveexec_b64 s[18:19], vcc
	s_cbranch_execz .LBB12_14
; %bb.13:
	s_mov_b32 s20, 0xf800000
	v_mul_f32_e32 v2, 0x4f800000, v19
	v_cmp_gt_f32_e32 vcc, s20, v19
	v_cndmask_b32_e32 v2, v19, v2, vcc
	v_sqrt_f32_e32 v3, v2
	v_add_f32_e32 v6, v19, v19
	s_mov_b32 s21, 0x40400000
	v_add_u32_e32 v7, -1, v3
	v_fma_f32 v8, -v7, v3, v2
	v_cmp_ge_f32_e64 s[6:7], 0, v8
	v_add_u32_e32 v8, 1, v3
	v_cndmask_b32_e64 v7, v3, v7, s[6:7]
	v_fma_f32 v3, -v8, v3, v2
	v_cmp_lt_f32_e64 s[6:7], 0, v3
	v_cndmask_b32_e64 v3, v7, v8, s[6:7]
	v_mul_f32_e32 v7, 0x37800000, v3
	v_cndmask_b32_e32 v3, v3, v7, vcc
	v_mov_b32_e32 v7, 0x260
	v_cmp_class_f32_e32 vcc, v2, v7
	v_cndmask_b32_e32 v2, v3, v2, vcc
	v_mul_f32_e32 v3, v6, v2
	v_div_scale_f32 v6, s[6:7], s21, s21, v3
	v_rcp_f32_e32 v8, v6
	v_fma_f32 v9, -v6, v8, 1.0
	v_fmac_f32_e32 v8, v9, v8
	v_div_scale_f32 v9, vcc, v3, s21, v3
	v_mul_f32_e32 v11, v9, v8
	v_fma_f32 v12, -v6, v11, v9
	v_fmac_f32_e32 v11, v12, v8
	v_fma_f32 v6, -v6, v11, v9
	v_div_fmas_f32 v6, v6, v8, v11
	v_div_fixup_f32 v6, v6, s21, v3
	v_div_scale_f32 v3, s[6:7], v6, v6, 1.0
	v_rcp_f32_e32 v8, v3
	v_fma_f32 v9, -v3, v8, 1.0
	v_fmac_f32_e32 v8, v9, v8
	v_div_scale_f32 v9, vcc, 1.0, v6, 1.0
	v_mul_f32_e32 v11, v9, v8
	v_fma_f32 v12, -v3, v11, v9
	v_fmac_f32_e32 v11, v12, v8
	v_fma_f32 v3, -v3, v11, v9
	v_div_fmas_f32 v3, v3, v8, v11
	v_div_fixup_f32 v3, v3, v6, 1.0
	v_mov_b32_e32 v8, 0x3eb16d71
	v_fmac_f32_e32 v8, 0, v3
	v_mov_b32_e32 v9, 0x41401f1c
	v_fmac_f32_e32 v9, v3, v8
	;; [unrolled: 2-line block ×14, first 2 shown]
	v_fma_f32 v9, v3, v9, 1.0
	v_fma_f32 v3, v3, v8, 1.0
	v_div_scale_f32 v8, s[6:7], v9, v9, v3
	v_rcp_f32_e32 v11, v8
	v_cmp_gt_f32_e64 s[6:7], s20, v2
	v_fma_f32 v12, -v8, v11, 1.0
	v_fmac_f32_e32 v11, v12, v11
	v_div_scale_f32 v12, vcc, v3, v9, v3
	v_mul_f32_e32 v14, v12, v11
	v_fma_f32 v16, -v8, v14, v12
	v_fmac_f32_e32 v14, v16, v11
	v_fma_f32 v8, -v8, v14, v12
	v_mul_f32_e32 v12, 0x4f800000, v2
	v_cndmask_b32_e64 v12, v2, v12, s[6:7]
	v_sqrt_f32_e32 v16, v12
	v_div_fmas_f32 v2, v8, v11, v14
	v_div_fixup_f32 v2, v2, v9, v3
	v_add_u32_e32 v3, -1, v16
	v_fma_f32 v8, -v3, v16, v12
	v_cmp_ge_f32_e32 vcc, 0, v8
	v_add_u32_e32 v8, 1, v16
	v_fma_f32 v9, -v8, v16, v12
	v_cndmask_b32_e32 v3, v16, v3, vcc
	v_cmp_lt_f32_e32 vcc, 0, v9
	v_cndmask_b32_e32 v3, v3, v8, vcc
	v_mul_f32_e32 v8, 0x37800000, v3
	v_cndmask_b32_e64 v3, v3, v8, s[6:7]
	v_cmp_class_f32_e32 vcc, v12, v7
	s_mov_b32 s6, 0x3fb8aa3b
	v_mul_f32_e32 v7, 0x3fb8aa3b, v6
	v_fma_f32 v8, v6, s6, -v7
	v_rndne_f32_e32 v9, v7
	v_fmac_f32_e32 v8, 0x32a5705f, v6
	v_sub_f32_e32 v7, v7, v9
	v_add_f32_e32 v7, v7, v8
	v_exp_f32_e32 v7, v7
	v_cvt_i32_f32_e32 v8, v9
	s_mov_b32 s6, 0x3f106ebb
	v_cndmask_b32_e32 v3, v3, v12, vcc
	s_mov_b32 s7, 2.0
	v_pk_mul_f32 v[2:3], v[2:3], s[6:7]
	s_mov_b32 s6, 0xc2ce8ed0
	v_ldexp_f32 v7, v7, v8
	v_cmp_ngt_f32_e32 vcc, s6, v6
	s_mov_b32 s6, 0x42b17218
	v_cndmask_b32_e32 v7, 0, v7, vcc
	v_mov_b32_e32 v8, 0x7f800000
	v_cmp_nlt_f32_e32 vcc, s6, v6
	v_cndmask_b32_e32 v6, v8, v7, vcc
	v_mul_f32_e32 v3, v3, v6
	v_div_scale_f32 v6, s[6:7], v3, v3, v2
	v_rcp_f32_e32 v7, v6
	s_mov_b32 s6, 0x41052018
	v_fma_f32 v8, -v6, v7, 1.0
	v_fmac_f32_e32 v7, v8, v7
	v_div_scale_f32 v8, vcc, v2, v3, v2
	v_mul_f32_e32 v9, v8, v7
	v_fma_f32 v11, -v6, v9, v8
	v_fmac_f32_e32 v9, v11, v7
	v_fma_f32 v6, -v6, v9, v8
	v_div_fmas_f32 v6, v6, v7, v9
	v_cmp_nlt_f32_e32 vcc, s6, v19
	s_andn2_b64 s[6:7], s[10:11], exec
	s_and_b64 s[20:21], vcc, exec
	v_div_fixup_f32 v6, v6, v3, v2
	s_or_b64 s[6:7], s[6:7], s[20:21]
.LBB12_14:
	s_or_b64 exec, exec, s[18:19]
	s_and_saveexec_b64 s[18:19], s[6:7]
	s_cbranch_execz .LBB12_18
; %bb.15:
	v_mul_f32_e32 v2, v19, v19
	v_mul_f32_e32 v2, v19, v2
	v_mov_b32_e32 v7, 1.0
	v_mov_b32_e32 v3, v2
	s_mov_b64 s[20:21], 0
	s_brev_b32 s22, 44
	v_mov_b32_e32 v18, v7
	v_mov_b32_e32 v8, 1.0
	v_mov_b32_e32 v9, v19
.LBB12_16:                              ; =>This Inner Loop Header: Depth=1
	v_pk_mul_f32 v[8:9], v[2:3], v[8:9]
	v_add_f32_e32 v11, 1.0, v7
	v_add_f32_e32 v12, 1.0, v11
	v_div_scale_f32 v14, s[6:7], v11, v11, v8
	v_rcp_f32_e32 v20, v14
	v_div_scale_f32 v21, s[6:7], v12, v12, v9
	v_rcp_f32_e32 v23, v21
	v_fma_f32 v24, -v14, v20, 1.0
	v_div_scale_f32 v16, vcc, v8, v11, v8
	v_fmac_f32_e32 v20, v24, v20
	v_fma_f32 v24, -v21, v23, 1.0
	v_div_scale_f32 v22, s[6:7], v9, v12, v9
	v_mul_f32_e32 v25, v16, v20
	v_fmac_f32_e32 v23, v24, v23
	v_fma_f32 v24, -v14, v25, v16
	v_mul_f32_e32 v26, v22, v23
	v_fmac_f32_e32 v25, v24, v20
	v_fma_f32 v24, -v21, v26, v22
	v_fma_f32 v14, -v14, v25, v16
	v_fmac_f32_e32 v26, v24, v23
	v_div_fmas_f32 v14, v14, v20, v25
	v_fma_f32 v16, -v21, v26, v22
	s_mov_b64 vcc, s[6:7]
	v_div_fixup_f32 v8, v14, v11, v8
	v_div_fmas_f32 v11, v16, v23, v26
	v_add_f32_e32 v7, 1.0, v12
	v_div_fixup_f32 v9, v11, v12, v9
	v_div_scale_f32 v11, s[6:7], v12, v12, v8
	v_div_scale_f32 v16, s[26:27], v7, v7, v9
	v_rcp_f32_e32 v21, v11
	v_rcp_f32_e32 v22, v16
	v_div_scale_f32 v14, s[6:7], v8, v12, v8
	v_fma_f32 v23, -v11, v21, 1.0
	v_fma_f32 v24, -v16, v22, 1.0
	v_div_scale_f32 v20, vcc, v9, v7, v9
	v_fmac_f32_e32 v21, v23, v21
	v_fmac_f32_e32 v22, v24, v22
	v_mul_f32_e32 v23, v14, v21
	v_mul_f32_e32 v24, v20, v22
	v_fma_f32 v25, -v11, v23, v14
	v_fma_f32 v26, -v16, v24, v20
	v_fmac_f32_e32 v23, v25, v21
	v_fmac_f32_e32 v24, v26, v22
	v_fma_f32 v11, -v11, v23, v14
	v_fma_f32 v14, -v16, v24, v20
	v_div_fmas_f32 v14, v14, v22, v24
	s_mov_b64 vcc, s[6:7]
	v_div_fmas_f32 v11, v11, v21, v23
	v_div_fixup_f32 v9, v14, v7, v9
	v_div_fixup_f32 v8, v11, v12, v8
	v_pk_add_f32 v[18:19], v[18:19], v[8:9]
	v_div_scale_f32 v11, s[6:7], v18, v18, v8
	v_rcp_f32_e32 v12, v11
	v_div_scale_f32 v14, vcc, v8, v18, v8
	v_fma_f32 v16, -v11, v12, 1.0
	v_fmac_f32_e32 v12, v16, v12
	v_mul_f32_e32 v16, v14, v12
	v_fma_f32 v20, -v11, v16, v14
	v_fmac_f32_e32 v16, v20, v12
	v_fma_f32 v11, -v11, v16, v14
	v_div_fmas_f32 v11, v11, v12, v16
	v_div_fixup_f32 v11, v11, v18, v8
	v_cmp_ngt_f32_e64 s[6:7], |v11|, s22
	s_or_b64 s[20:21], s[6:7], s[20:21]
	s_andn2_b64 exec, exec, s[20:21]
	s_cbranch_execnz .LBB12_16
; %bb.17:
	s_or_b64 exec, exec, s[20:21]
	s_mov_b32 s6, 0x3eb5c63d
	s_mov_b32 s7, 0x3e8483fa
	v_pk_mul_f32 v[2:3], v[18:19], s[6:7]
	v_sub_f32_e32 v2, v2, v3
	v_cndmask_b32_e64 v6, v6, v2, s[10:11]
.LBB12_18:
	s_or_b64 exec, exec, s[18:19]
                                        ; implicit-def: $vgpr19
.LBB12_19:
	s_andn2_saveexec_b64 s[18:19], s[8:9]
	s_cbranch_execz .LBB12_29
; %bb.20:
	s_mov_b32 s6, 0x8f800000
	v_mul_f32_e32 v2, 0xcf800000, v19
	v_cmp_lt_f32_e32 vcc, s6, v19
	v_cndmask_b32_e64 v2, -v19, v2, vcc
	v_sqrt_f32_e32 v3, v2
	v_mul_f32_e32 v6, -2.0, v19
	s_mov_b32 s8, 0x40400000
	v_add_u32_e32 v7, -1, v3
	v_fma_f32 v8, -v7, v3, v2
	v_cmp_ge_f32_e64 s[6:7], 0, v8
	v_add_u32_e32 v8, 1, v3
	v_cndmask_b32_e64 v7, v3, v7, s[6:7]
	v_fma_f32 v3, -v8, v3, v2
	v_cmp_lt_f32_e64 s[6:7], 0, v3
	v_cndmask_b32_e64 v3, v7, v8, s[6:7]
	v_mul_f32_e32 v7, 0x37800000, v3
	v_cndmask_b32_e32 v3, v3, v7, vcc
	v_mov_b32_e32 v7, 0x260
	v_cmp_class_f32_e32 vcc, v2, v7
	v_cndmask_b32_e32 v2, v3, v2, vcc
	v_mul_f32_e32 v3, v6, v2
	v_div_scale_f32 v6, s[6:7], s8, s8, v3
	v_rcp_f32_e32 v7, v6
	s_brev_b32 s6, 18
	v_fma_f32 v8, -v6, v7, 1.0
	v_fmac_f32_e32 v7, v8, v7
	v_div_scale_f32 v8, vcc, v3, s8, v3
	v_mul_f32_e32 v9, v8, v7
	v_fma_f32 v11, -v6, v9, v8
	v_fmac_f32_e32 v9, v11, v7
	v_fma_f32 v6, -v6, v9, v8
	v_div_fmas_f32 v6, v6, v7, v9
	v_div_fixup_f32 v7, v6, s8, v3
	v_add_f32_e32 v3, 0x3f490fdb, v7
	v_and_b32_e32 v6, 0x7fffffff, v3
	v_cmp_nlt_f32_e64 s[20:21], |v3|, s6
	v_lshrrev_b32_e32 v14, 23, v6
                                        ; implicit-def: $vgpr8
                                        ; implicit-def: $vgpr9
	s_and_saveexec_b64 s[6:7], s[20:21]
	s_xor_b64 s[22:23], exec, s[6:7]
	s_cbranch_execz .LBB12_22
; %bb.21:
	v_add_u32_e32 v8, 0xffffff88, v14
	v_not_b32_e32 v11, 63
	v_cmp_lt_u32_e32 vcc, 63, v8
	v_cndmask_b32_e32 v11, 0, v11, vcc
	v_add_u32_e32 v8, v11, v8
	v_not_b32_e32 v11, 31
	v_cmp_lt_u32_e64 s[6:7], 31, v8
	v_cndmask_b32_e64 v12, 0, v11, s[6:7]
	v_add_u32_e32 v8, v12, v8
	v_cmp_lt_u32_e64 s[8:9], 31, v8
	v_cndmask_b32_e64 v11, 0, v11, s[8:9]
	v_add_u32_e32 v11, v11, v8
	v_and_b32_e32 v8, 0x7fffff, v6
	v_or_b32_e32 v12, 0x800000, v8
	s_mov_b32 s10, 0xfe5163ab
	v_mad_u64_u32 v[18:19], s[10:11], v12, s10, 0
	v_mov_b32_e32 v9, 0
	v_mov_b32_e32 v8, v19
	s_mov_b32 s10, 0x3c439041
	v_mad_u64_u32 v[20:21], s[10:11], v12, s10, v[8:9]
	v_mov_b32_e32 v8, v21
	s_mov_b32 s10, 0xdb629599
	v_mad_u64_u32 v[22:23], s[10:11], v12, s10, v[8:9]
	;; [unrolled: 3-line block ×6, first 2 shown]
	v_cndmask_b32_e32 v16, v28, v24, vcc
	v_cndmask_b32_e32 v8, v8, v26, vcc
	;; [unrolled: 1-line block ×3, first 2 shown]
	v_cndmask_b32_e64 v12, v8, v16, s[6:7]
	v_cndmask_b32_e64 v8, v9, v8, s[6:7]
	v_cndmask_b32_e32 v9, v26, v22, vcc
	v_cndmask_b32_e64 v16, v16, v9, s[6:7]
	v_sub_u32_e32 v19, 32, v11
	v_cmp_eq_u32_e64 s[10:11], 0, v11
	v_cndmask_b32_e32 v11, v24, v20, vcc
	v_cndmask_b32_e64 v8, v8, v12, s[8:9]
	v_cndmask_b32_e64 v12, v12, v16, s[8:9]
	;; [unrolled: 1-line block ×3, first 2 shown]
	v_alignbit_b32 v21, v8, v12, v19
	v_cndmask_b32_e64 v16, v16, v9, s[8:9]
	v_cndmask_b32_e64 v8, v21, v8, s[10:11]
	v_alignbit_b32 v20, v12, v16, v19
	v_cndmask_b32_e32 v18, v22, v18, vcc
	v_cndmask_b32_e64 v12, v20, v12, s[10:11]
	v_bfe_u32 v23, v8, 29, 1
	v_cndmask_b32_e64 v11, v11, v18, s[6:7]
	v_alignbit_b32 v20, v8, v12, 30
	v_sub_u32_e32 v24, 0, v23
	v_cndmask_b32_e64 v9, v9, v11, s[8:9]
	v_xor_b32_e32 v25, v20, v24
	v_alignbit_b32 v11, v16, v9, v19
	v_cndmask_b32_e64 v11, v11, v16, s[10:11]
	v_ffbh_u32_e32 v16, v25
	v_add_u32_e32 v16, 1, v16
	v_cmp_ne_u32_e32 vcc, v20, v24
	v_alignbit_b32 v12, v12, v11, 30
	v_cndmask_b32_e32 v16, 33, v16, vcc
	v_alignbit_b32 v9, v11, v9, 30
	v_xor_b32_e32 v12, v12, v24
	v_sub_u32_e32 v18, 32, v16
	v_xor_b32_e32 v9, v9, v24
	v_alignbit_b32 v19, v25, v12, v18
	v_alignbit_b32 v9, v12, v9, v18
	;; [unrolled: 1-line block ×3, first 2 shown]
	v_ffbh_u32_e32 v12, v11
	v_min_u32_e32 v12, 32, v12
	v_lshrrev_b32_e32 v21, 29, v8
	v_sub_u32_e32 v18, 31, v12
	v_alignbit_b32 v9, v11, v9, v18
	v_lshlrev_b32_e32 v11, 31, v21
	v_or_b32_e32 v18, 0x33800000, v11
	v_add_lshl_u32 v12, v12, v16, 23
	v_lshrrev_b32_e32 v9, 9, v9
	v_sub_u32_e32 v12, v18, v12
	v_or_b32_e32 v9, v12, v9
	v_alignbit_b32 v12, v16, v19, 9
	v_or_b32_e32 v11, v12, v11
	v_xor_b32_e32 v11, 1.0, v11
	s_mov_b32 s6, 0x3fc90fda
	v_mul_f32_e32 v12, 0x3fc90fda, v11
	v_fma_f32 v16, v11, s6, -v12
	v_fmac_f32_e32 v16, 0x33a22168, v11
	v_fmac_f32_e32 v16, 0x3fc90fda, v9
	v_lshrrev_b32_e32 v8, 30, v8
	v_add_f32_e32 v9, v12, v16
	v_add_u32_e32 v8, v23, v8
	s_andn2_saveexec_b64 s[6:7], s[22:23]
	s_branch .LBB12_23
.LBB12_22:
	s_andn2_saveexec_b64 s[6:7], s[22:23]
.LBB12_23:
	s_mov_b32 s8, 0x3f22f983
	v_mul_f32_e64 v8, |v3|, s8
	v_rndne_f32_e32 v11, v8
	s_mov_b32 s8, 0xbfc90fda
	v_cvt_i32_f32_e32 v8, v11
	v_fma_f32 v9, v11, s8, |v3|
	v_fmac_f32_e32 v9, 0xb3a22168, v11
	v_fmac_f32_e32 v9, 0xa7c234c4, v11
; %bb.24:
	s_or_b64 exec, exec, s[6:7]
                                        ; implicit-def: $vgpr11
                                        ; implicit-def: $vgpr12
	s_and_saveexec_b64 s[6:7], s[20:21]
	s_xor_b64 s[20:21], exec, s[6:7]
	s_cbranch_execz .LBB12_26
; %bb.25:
	v_add_u32_e32 v11, 0xffffff88, v14
	v_not_b32_e32 v12, 63
	v_cmp_lt_u32_e32 vcc, 63, v11
	v_cndmask_b32_e32 v12, 0, v12, vcc
	v_add_u32_e32 v11, v12, v11
	v_not_b32_e32 v12, 31
	v_cmp_lt_u32_e64 s[6:7], 31, v11
	v_cndmask_b32_e64 v14, 0, v12, s[6:7]
	v_add_u32_e32 v11, v14, v11
	v_cmp_lt_u32_e64 s[8:9], 31, v11
	v_cndmask_b32_e64 v12, 0, v12, s[8:9]
	v_add_u32_e32 v11, v12, v11
	v_and_b32_e32 v12, 0x7fffff, v6
	v_or_b32_e32 v12, 0x800000, v12
	s_mov_b32 s10, 0xfe5163ab
	v_mad_u64_u32 v[20:21], s[10:11], v12, s10, 0
	v_mov_b32_e32 v19, 0
	v_mov_b32_e32 v18, v21
	s_mov_b32 s10, 0x3c439041
	v_mad_u64_u32 v[22:23], s[10:11], v12, s10, v[18:19]
	v_mov_b32_e32 v18, v23
	s_mov_b32 s10, 0xdb629599
	v_mad_u64_u32 v[24:25], s[10:11], v12, s10, v[18:19]
	;; [unrolled: 3-line block ×6, first 2 shown]
	v_cndmask_b32_e32 v14, v30, v26, vcc
	v_cndmask_b32_e32 v12, v18, v28, vcc
	;; [unrolled: 1-line block ×3, first 2 shown]
	v_cndmask_b32_e64 v16, v12, v14, s[6:7]
	v_cndmask_b32_e64 v12, v18, v12, s[6:7]
	v_cndmask_b32_e32 v18, v28, v24, vcc
	v_cndmask_b32_e64 v14, v14, v18, s[6:7]
	v_cndmask_b32_e64 v12, v12, v16, s[8:9]
	;; [unrolled: 1-line block ×3, first 2 shown]
	v_sub_u32_e32 v19, 32, v11
	v_alignbit_b32 v21, v12, v16, v19
	v_cmp_eq_u32_e64 s[10:11], 0, v11
	v_cndmask_b32_e64 v11, v21, v12, s[10:11]
	v_cndmask_b32_e32 v12, v26, v22, vcc
	v_cndmask_b32_e64 v18, v18, v12, s[6:7]
	v_cndmask_b32_e64 v14, v14, v18, s[8:9]
	v_alignbit_b32 v21, v16, v14, v19
	v_cndmask_b32_e32 v20, v24, v20, vcc
	v_cndmask_b32_e64 v16, v21, v16, s[10:11]
	v_bfe_u32 v23, v11, 29, 1
	v_cndmask_b32_e64 v12, v12, v20, s[6:7]
	v_alignbit_b32 v21, v11, v16, 30
	v_sub_u32_e32 v25, 0, v23
	v_cndmask_b32_e64 v12, v18, v12, s[8:9]
	v_xor_b32_e32 v26, v21, v25
	v_alignbit_b32 v18, v14, v12, v19
	v_cndmask_b32_e64 v14, v18, v14, s[10:11]
	v_ffbh_u32_e32 v18, v26
	v_add_u32_e32 v18, 1, v18
	v_cmp_ne_u32_e32 vcc, v21, v25
	v_alignbit_b32 v16, v16, v14, 30
	v_cndmask_b32_e32 v18, 33, v18, vcc
	v_alignbit_b32 v12, v14, v12, 30
	v_xor_b32_e32 v16, v16, v25
	v_sub_u32_e32 v19, 32, v18
	v_xor_b32_e32 v12, v12, v25
	v_alignbit_b32 v20, v26, v16, v19
	v_alignbit_b32 v12, v16, v12, v19
	;; [unrolled: 1-line block ×3, first 2 shown]
	v_ffbh_u32_e32 v16, v14
	v_min_u32_e32 v16, 32, v16
	v_lshrrev_b32_e32 v22, 29, v11
	v_sub_u32_e32 v19, 31, v16
	v_alignbit_b32 v12, v14, v12, v19
	v_lshlrev_b32_e32 v14, 31, v22
	v_or_b32_e32 v19, 0x33800000, v14
	v_add_lshl_u32 v16, v16, v18, 23
	v_lshrrev_b32_e32 v12, 9, v12
	v_sub_u32_e32 v16, v19, v16
	v_or_b32_e32 v12, v16, v12
	v_alignbit_b32 v16, v18, v20, 9
	v_or_b32_e32 v14, v16, v14
	v_xor_b32_e32 v14, 1.0, v14
	s_mov_b32 s6, 0x3fc90fda
	v_mul_f32_e32 v16, 0x3fc90fda, v14
	v_fma_f32 v18, v14, s6, -v16
	v_fmac_f32_e32 v18, 0x33a22168, v14
	v_fmac_f32_e32 v18, 0x3fc90fda, v12
	v_lshrrev_b32_e32 v11, 30, v11
	v_add_f32_e32 v12, v16, v18
	v_add_u32_e32 v11, v23, v11
	s_andn2_saveexec_b64 s[6:7], s[20:21]
	s_cbranch_execnz .LBB12_27
	s_branch .LBB12_28
.LBB12_26:
	s_andn2_saveexec_b64 s[6:7], s[20:21]
.LBB12_27:
	s_mov_b32 s8, 0x3f22f983
	v_mul_f32_e64 v11, |v3|, s8
	v_rndne_f32_e32 v14, v11
	s_mov_b32 s8, 0xbfc90fda
	v_cvt_i32_f32_e32 v11, v14
	v_fma_f32 v12, v14, s8, |v3|
	v_fmac_f32_e32 v12, 0xb3a22168, v14
	v_fmac_f32_e32 v12, 0xa7c234c4, v14
.LBB12_28:
	s_or_b64 exec, exec, s[6:7]
	v_div_scale_f32 v14, s[6:7], v7, v7, 1.0
	v_rcp_f32_e32 v16, v14
	v_div_scale_f32 v18, vcc, 1.0, v7, 1.0
	v_mov_b32_e32 v23, 0xbab64f3b
	v_fma_f32 v19, -v14, v16, 1.0
	v_fmac_f32_e32 v16, v19, v16
	v_mul_f32_e32 v19, v18, v16
	v_fma_f32 v20, -v14, v19, v18
	v_fmac_f32_e32 v19, v20, v16
	v_fma_f32 v14, -v14, v19, v18
	v_div_fmas_f32 v14, v14, v16, v19
	v_div_fixup_f32 v7, v14, v7, 1.0
	v_mul_f32_e32 v14, v7, v7
	v_mov_b32_e32 v16, 0xbe06db67
	v_fmac_f32_e32 v16, 0, v14
	v_mov_b32_e32 v18, 0xbf205f75
	v_fmac_f32_e32 v18, v14, v16
	v_mov_b32_e32 v16, 0xbf3172ce
	v_fmac_f32_e32 v16, v14, v18
	v_mov_b32_e32 v18, 0xbe8f3f52
	v_fmac_f32_e32 v18, v14, v16
	v_mov_b32_e32 v16, 0xbd497b78
	v_fmac_f32_e32 v16, v14, v18
	v_mov_b32_e32 v18, 0xbb85200e
	v_fmac_f32_e32 v18, v14, v16
	v_mov_b32_e32 v16, 0xb9270375
	v_fmac_f32_e32 v16, v14, v18
	v_mov_b32_e32 v18, 0xb63a53c1
	v_fmac_f32_e32 v18, v14, v16
	v_mov_b32_e32 v16, 0x4155b259
	v_fmac_f32_e32 v16, 0, v14
	v_mov_b32_e32 v19, 0x4202bae2
	v_fmac_f32_e32 v19, v14, v16
	v_mov_b32_e32 v16, 0x41d5e4c5
	v_fmac_f32_e32 v16, v14, v19
	v_mov_b32_e32 v19, 0x4112fe41
	v_fmac_f32_e32 v19, v14, v16
	v_mov_b32_e32 v16, 0x3fbcd65a
	v_fmac_f32_e32 v16, v14, v19
	v_mov_b32_e32 v19, 0x3deced66
	v_fmac_f32_e32 v19, v14, v16
	v_mov_b32_e32 v16, 0x3b904657
	v_fmac_f32_e32 v16, v14, v19
	v_mov_b32_e32 v19, 0x389e46bd
	v_fmac_f32_e32 v19, v14, v16
	v_mov_b32_e32 v16, 0x34f295ce
	v_fmac_f32_e32 v16, v14, v19
	v_mov_b32_e32 v19, 0xb29020e8
	v_fmac_f32_e32 v19, v14, v18
	v_mul_f32_e32 v18, v9, v9
	v_mov_b32_e32 v21, 0x3c0881c4
	v_fmac_f32_e32 v23, 0x37d75334, v18
	v_mov_b32_e32 v24, 0x3d2aabf7
	v_fmac_f32_e32 v21, 0xb94c1982, v18
	v_mov_b32_e32 v22, 0xbe2aaa9d
	v_fma_f32 v23, v18, v23, v24
	v_mov_b32_e32 v25, 0xbf000004
	v_fma_f32 v21, v18, v21, v22
	v_fma_f32 v23, v18, v23, v25
	v_mul_f32_e32 v21, v18, v21
	v_fma_f32 v18, v18, v23, 1.0
	v_and_b32_e32 v23, 1, v8
	v_lshlrev_b32_e32 v8, 30, v8
	v_fmac_f32_e32 v9, v9, v21
	v_cmp_eq_u32_e32 vcc, 0, v23
	v_and_b32_e32 v8, 0x80000000, v8
	v_xor_b32_e32 v6, v6, v3
	v_cndmask_b32_e32 v9, v18, v9, vcc
	v_xor_b32_e32 v6, v6, v8
	v_mul_f32_e32 v8, v14, v19
	v_xor_b32_e32 v6, v6, v9
	v_div_scale_f32 v9, s[6:7], v16, v16, v8
	v_rcp_f32_e32 v18, v9
	s_movk_i32 s8, 0x1f8
	v_mov_b32_e32 v19, 0x7fc00000
	v_cmp_class_f32_e64 s[6:7], v3, s8
	v_cndmask_b32_e64 v3, v19, v6, s[6:7]
	v_fma_f32 v6, -v9, v18, 1.0
	v_fmac_f32_e32 v18, v6, v18
	v_div_scale_f32 v6, vcc, v8, v16, v8
	v_mul_f32_e32 v23, v6, v18
	v_fma_f32 v26, -v9, v23, v6
	v_fmac_f32_e32 v23, v26, v18
	v_fma_f32 v6, -v9, v23, v6
	v_div_fmas_f32 v6, v6, v18, v23
	v_div_fixup_f32 v6, v6, v16, v8
	v_mov_b32_e32 v8, 0x3ca1a92f
	v_fmac_f32_e32 v8, 0, v14
	v_mov_b32_e32 v9, 0x3ec83ea8
	v_fmac_f32_e32 v9, v14, v8
	;; [unrolled: 2-line block ×17, first 2 shown]
	v_mov_b32_e32 v9, 0x3b873823
	s_mov_b32 s8, 0xf800000
	v_fmac_f32_e32 v9, v14, v16
	v_mul_f32_e32 v16, 0x4f800000, v2
	v_cmp_gt_f32_e32 vcc, s8, v2
	v_cndmask_b32_e32 v2, v2, v16, vcc
	v_sqrt_f32_e32 v16, v2
	s_mov_b32 s10, 0x3f106ebb
	v_mov_b32_e32 v18, 0x38d45b0f
	v_fmac_f32_e32 v18, v14, v9
	v_add_u32_e32 v23, -1, v16
	v_fma_f32 v26, -v23, v16, v2
	v_cmp_ge_f32_e64 s[8:9], 0, v26
	v_add_u32_e32 v26, 1, v16
	v_cndmask_b32_e64 v23, v16, v23, s[8:9]
	v_fma_f32 v16, -v26, v16, v2
	v_cmp_lt_f32_e64 s[8:9], 0, v16
	v_cndmask_b32_e64 v16, v23, v26, s[8:9]
	v_mul_f32_e32 v23, 0x37800000, v16
	v_cndmask_b32_e32 v16, v16, v23, vcc
	v_mov_b32_e32 v23, 0x260
	v_cmp_class_f32_e32 vcc, v2, v23
	v_cndmask_b32_e32 v2, v16, v2, vcc
	v_div_scale_f32 v16, s[8:9], v2, v2, s10
	v_rcp_f32_e32 v23, v16
	v_mov_b32_e32 v9, 0x359d422f
	v_fmac_f32_e32 v9, v14, v18
	v_mov_b32_e32 v18, 0x31a8fe3a
	v_fmac_f32_e32 v18, v14, v9
	v_fma_f32 v9, -v16, v23, 1.0
	v_fmac_f32_e32 v23, v9, v23
	v_div_scale_f32 v9, vcc, s10, v2, s10
	v_mul_f32_e32 v14, v9, v23
	v_fma_f32 v26, -v16, v14, v9
	v_fmac_f32_e32 v14, v26, v23
	v_fma_f32 v9, -v16, v14, v9
	v_div_fmas_f32 v9, v9, v23, v14
	v_mov_b32_e32 v20, 0x3c0881c4
	v_div_fixup_f32 v2, v9, v2, s10
	v_mul_f32_e32 v9, v12, v12
	v_mov_b32_e32 v21, 0xbab64f3b
	v_fmac_f32_e32 v20, 0xb94c1982, v9
	v_fmac_f32_e32 v22, v9, v20
	;; [unrolled: 1-line block ×3, first 2 shown]
	v_mul_f32_e32 v14, v9, v22
	v_fmac_f32_e32 v24, v9, v21
	v_fmac_f32_e32 v12, v12, v14
	;; [unrolled: 1-line block ×3, first 2 shown]
	v_and_b32_e32 v14, 1, v11
	v_mul_f32_e32 v7, v7, v8
	v_fma_f32 v9, v9, v25, 1.0
	v_cmp_eq_u32_e32 vcc, 0, v14
	v_div_scale_f32 v8, s[8:9], v18, v18, v7
	v_cndmask_b32_e64 v9, -v12, v9, vcc
	v_rcp_f32_e32 v12, v8
	v_lshlrev_b32_e32 v11, 30, v11
	v_and_b32_e32 v11, 0x80000000, v11
	v_xor_b32_e32 v9, v11, v9
	v_fma_f32 v11, -v8, v12, 1.0
	v_fmac_f32_e32 v12, v11, v12
	v_div_scale_f32 v11, vcc, v7, v18, v7
	v_mul_f32_e32 v14, v11, v12
	v_fma_f32 v16, -v8, v14, v11
	v_fmac_f32_e32 v14, v16, v12
	v_fma_f32 v8, -v8, v14, v11
	v_div_fmas_f32 v8, v8, v12, v14
	v_cndmask_b32_e64 v9, v19, v9, s[6:7]
	v_div_fixup_f32 v7, v8, v18, v7
	v_add_f32_e32 v6, 1.0, v6
	v_mul_f32_e32 v7, v7, v9
	v_fma_f32 v3, v6, v3, -v7
	v_mul_f32_e32 v6, v2, v3
.LBB12_29:
	s_or_b64 exec, exec, s[18:19]
.LBB12_30:
	s_or_b64 exec, exec, s[16:17]
.LBB12_31:
	s_or_b64 exec, exec, s[14:15]
.LBB12_32:
	s_or_b64 exec, exec, s[12:13]
	v_add_u32_e32 v20, 0x100, v5
	v_cmp_lt_i32_e32 vcc, v20, v4
	s_and_saveexec_b64 s[12:13], vcc
	s_cbranch_execz .LBB12_56
; %bb.33:
	s_mov_b32 s6, 0x7f800000
	s_waitcnt vmcnt(0) lgkmcnt(0)
	v_cmp_neq_f32_e64 s[6:7], |v17|, s6
	v_mov_b32_e32 v7, 0x7fc00000
	s_and_saveexec_b64 s[14:15], s[6:7]
	s_cbranch_execz .LBB12_55
; %bb.34:
	s_mov_b32 s6, 0x42cfc8b4
	v_cmp_nlt_f32_e32 vcc, s6, v17
	v_mov_b32_e32 v7, 0
	s_and_saveexec_b64 s[16:17], vcc
	s_cbranch_execz .LBB12_54
; %bb.35:
	s_mov_b32 s6, 0xc005c28f
	v_cmp_ngt_f32_e32 vcc, s6, v17
	s_and_saveexec_b64 s[6:7], vcc
	s_xor_b64 s[8:9], exec, s[6:7]
	s_cbranch_execz .LBB12_43
; %bb.36:
	s_mov_b32 s6, 0x4005c28f
	v_cmp_nle_f32_e64 s[10:11], s6, v17
	v_cmp_le_f32_e32 vcc, s6, v17
	v_mov_b32_e32 v7, 0
	s_mov_b64 s[6:7], s[10:11]
	s_and_saveexec_b64 s[18:19], vcc
	s_cbranch_execz .LBB12_38
; %bb.37:
	s_mov_b32 s20, 0xf800000
	v_mul_f32_e32 v2, 0x4f800000, v17
	v_cmp_gt_f32_e32 vcc, s20, v17
	v_cndmask_b32_e32 v2, v17, v2, vcc
	v_sqrt_f32_e32 v3, v2
	v_add_f32_e32 v7, v17, v17
	s_mov_b32 s21, 0x40400000
	v_add_u32_e32 v11, -1, v3
	v_fma_f32 v12, -v11, v3, v2
	v_cmp_ge_f32_e64 s[6:7], 0, v12
	v_add_u32_e32 v12, 1, v3
	v_cndmask_b32_e64 v11, v3, v11, s[6:7]
	v_fma_f32 v3, -v12, v3, v2
	v_cmp_lt_f32_e64 s[6:7], 0, v3
	v_cndmask_b32_e64 v3, v11, v12, s[6:7]
	v_mul_f32_e32 v11, 0x37800000, v3
	v_cndmask_b32_e32 v3, v3, v11, vcc
	v_mov_b32_e32 v11, 0x260
	v_cmp_class_f32_e32 vcc, v2, v11
	v_cndmask_b32_e32 v2, v3, v2, vcc
	v_mul_f32_e32 v3, v7, v2
	v_div_scale_f32 v7, s[6:7], s21, s21, v3
	v_rcp_f32_e32 v12, v7
	v_fma_f32 v14, -v7, v12, 1.0
	v_fmac_f32_e32 v12, v14, v12
	v_div_scale_f32 v14, vcc, v3, s21, v3
	v_mul_f32_e32 v16, v14, v12
	v_fma_f32 v18, -v7, v16, v14
	v_fmac_f32_e32 v16, v18, v12
	v_fma_f32 v7, -v7, v16, v14
	v_div_fmas_f32 v7, v7, v12, v16
	v_div_fixup_f32 v7, v7, s21, v3
	v_div_scale_f32 v3, s[6:7], v7, v7, 1.0
	v_rcp_f32_e32 v12, v3
	v_fma_f32 v14, -v3, v12, 1.0
	v_fmac_f32_e32 v12, v14, v12
	v_div_scale_f32 v14, vcc, 1.0, v7, 1.0
	v_mul_f32_e32 v16, v14, v12
	v_fma_f32 v18, -v3, v16, v14
	v_fmac_f32_e32 v16, v18, v12
	v_fma_f32 v3, -v3, v16, v14
	v_div_fmas_f32 v3, v3, v12, v16
	v_div_fixup_f32 v3, v3, v7, 1.0
	v_mov_b32_e32 v12, 0x3eb16d71
	v_fmac_f32_e32 v12, 0, v3
	v_mov_b32_e32 v14, 0x41401f1c
	v_fmac_f32_e32 v14, v3, v12
	;; [unrolled: 2-line block ×14, first 2 shown]
	v_fma_f32 v14, v3, v14, 1.0
	v_fma_f32 v3, v3, v12, 1.0
	v_div_scale_f32 v12, s[6:7], v14, v14, v3
	v_rcp_f32_e32 v16, v12
	v_cmp_gt_f32_e64 s[6:7], s20, v2
	v_fma_f32 v18, -v12, v16, 1.0
	v_fmac_f32_e32 v16, v18, v16
	v_div_scale_f32 v18, vcc, v3, v14, v3
	v_mul_f32_e32 v19, v18, v16
	v_fma_f32 v21, -v12, v19, v18
	v_fmac_f32_e32 v19, v21, v16
	v_fma_f32 v12, -v12, v19, v18
	v_mul_f32_e32 v18, 0x4f800000, v2
	v_cndmask_b32_e64 v18, v2, v18, s[6:7]
	v_sqrt_f32_e32 v21, v18
	v_div_fmas_f32 v2, v12, v16, v19
	v_div_fixup_f32 v2, v2, v14, v3
	v_add_u32_e32 v3, -1, v21
	v_fma_f32 v12, -v3, v21, v18
	v_cmp_ge_f32_e32 vcc, 0, v12
	v_add_u32_e32 v12, 1, v21
	v_fma_f32 v14, -v12, v21, v18
	v_cndmask_b32_e32 v3, v21, v3, vcc
	v_cmp_lt_f32_e32 vcc, 0, v14
	v_cndmask_b32_e32 v3, v3, v12, vcc
	v_mul_f32_e32 v12, 0x37800000, v3
	v_cndmask_b32_e64 v3, v3, v12, s[6:7]
	v_cmp_class_f32_e32 vcc, v18, v11
	s_mov_b32 s6, 0x3fb8aa3b
	v_mul_f32_e32 v11, 0x3fb8aa3b, v7
	v_fma_f32 v12, v7, s6, -v11
	v_rndne_f32_e32 v14, v11
	v_fmac_f32_e32 v12, 0x32a5705f, v7
	v_sub_f32_e32 v11, v11, v14
	v_add_f32_e32 v11, v11, v12
	v_exp_f32_e32 v11, v11
	v_cvt_i32_f32_e32 v12, v14
	s_mov_b32 s6, 0x3f106ebb
	v_cndmask_b32_e32 v3, v3, v18, vcc
	s_mov_b32 s7, 2.0
	v_pk_mul_f32 v[2:3], v[2:3], s[6:7]
	s_mov_b32 s6, 0xc2ce8ed0
	v_ldexp_f32 v11, v11, v12
	v_cmp_ngt_f32_e32 vcc, s6, v7
	s_mov_b32 s6, 0x42b17218
	v_cndmask_b32_e32 v11, 0, v11, vcc
	v_mov_b32_e32 v12, 0x7f800000
	v_cmp_nlt_f32_e32 vcc, s6, v7
	v_cndmask_b32_e32 v7, v12, v11, vcc
	v_mul_f32_e32 v3, v3, v7
	v_div_scale_f32 v7, s[6:7], v3, v3, v2
	v_rcp_f32_e32 v11, v7
	s_mov_b32 s6, 0x41052018
	v_fma_f32 v12, -v7, v11, 1.0
	v_fmac_f32_e32 v11, v12, v11
	v_div_scale_f32 v12, vcc, v2, v3, v2
	v_mul_f32_e32 v14, v12, v11
	v_fma_f32 v16, -v7, v14, v12
	v_fmac_f32_e32 v14, v16, v11
	v_fma_f32 v7, -v7, v14, v12
	v_div_fmas_f32 v7, v7, v11, v14
	v_cmp_nlt_f32_e32 vcc, s6, v17
	s_andn2_b64 s[6:7], s[10:11], exec
	s_and_b64 s[20:21], vcc, exec
	v_div_fixup_f32 v7, v7, v3, v2
	s_or_b64 s[6:7], s[6:7], s[20:21]
.LBB12_38:
	s_or_b64 exec, exec, s[18:19]
	s_and_saveexec_b64 s[18:19], s[6:7]
	s_cbranch_execz .LBB12_42
; %bb.39:
	v_mul_f32_e32 v2, v17, v17
	v_mul_f32_e32 v2, v17, v2
	v_mov_b32_e32 v11, 1.0
	v_mov_b32_e32 v3, v2
	s_mov_b64 s[20:21], 0
	s_brev_b32 s22, 44
	v_mov_b32_e32 v16, v11
	v_mov_b32_e32 v18, 1.0
	v_mov_b32_e32 v19, v17
.LBB12_40:                              ; =>This Inner Loop Header: Depth=1
	v_pk_mul_f32 v[18:19], v[2:3], v[18:19]
	v_add_f32_e32 v12, 1.0, v11
	v_add_f32_e32 v14, 1.0, v12
	v_div_scale_f32 v21, s[6:7], v12, v12, v18
	v_rcp_f32_e32 v23, v21
	v_div_scale_f32 v24, s[6:7], v14, v14, v19
	v_rcp_f32_e32 v26, v24
	v_fma_f32 v27, -v21, v23, 1.0
	v_div_scale_f32 v22, vcc, v18, v12, v18
	v_fmac_f32_e32 v23, v27, v23
	v_fma_f32 v27, -v24, v26, 1.0
	v_div_scale_f32 v25, s[6:7], v19, v14, v19
	v_mul_f32_e32 v28, v22, v23
	v_fmac_f32_e32 v26, v27, v26
	v_fma_f32 v27, -v21, v28, v22
	v_mul_f32_e32 v29, v25, v26
	v_fmac_f32_e32 v28, v27, v23
	v_fma_f32 v27, -v24, v29, v25
	v_fma_f32 v21, -v21, v28, v22
	v_fmac_f32_e32 v29, v27, v26
	v_div_fmas_f32 v21, v21, v23, v28
	v_fma_f32 v22, -v24, v29, v25
	s_mov_b64 vcc, s[6:7]
	v_div_fixup_f32 v12, v21, v12, v18
	v_div_fmas_f32 v18, v22, v26, v29
	v_add_f32_e32 v11, 1.0, v14
	v_div_fixup_f32 v18, v18, v14, v19
	v_div_scale_f32 v19, s[6:7], v14, v14, v12
	v_div_scale_f32 v22, s[26:27], v11, v11, v18
	v_rcp_f32_e32 v24, v19
	v_rcp_f32_e32 v25, v22
	v_div_scale_f32 v21, s[6:7], v12, v14, v12
	v_fma_f32 v26, -v19, v24, 1.0
	v_fma_f32 v27, -v22, v25, 1.0
	v_div_scale_f32 v23, vcc, v18, v11, v18
	v_fmac_f32_e32 v24, v26, v24
	v_fmac_f32_e32 v25, v27, v25
	v_mul_f32_e32 v26, v21, v24
	v_mul_f32_e32 v27, v23, v25
	v_fma_f32 v28, -v19, v26, v21
	v_fma_f32 v29, -v22, v27, v23
	v_fmac_f32_e32 v26, v28, v24
	v_fmac_f32_e32 v27, v29, v25
	v_fma_f32 v21, -v19, v26, v21
	v_fma_f32 v19, -v22, v27, v23
	v_div_fmas_f32 v19, v19, v25, v27
	s_mov_b64 vcc, s[6:7]
	v_div_fixup_f32 v19, v19, v11, v18
	v_div_fmas_f32 v18, v21, v24, v26
	v_div_fixup_f32 v18, v18, v14, v12
	v_pk_add_f32 v[16:17], v[16:17], v[18:19]
	v_div_scale_f32 v12, s[6:7], v16, v16, v18
	v_rcp_f32_e32 v14, v12
	v_div_scale_f32 v21, vcc, v18, v16, v18
	v_fma_f32 v22, -v12, v14, 1.0
	v_fmac_f32_e32 v14, v22, v14
	v_mul_f32_e32 v22, v21, v14
	v_fma_f32 v23, -v12, v22, v21
	v_fmac_f32_e32 v22, v23, v14
	v_fma_f32 v12, -v12, v22, v21
	v_div_fmas_f32 v12, v12, v14, v22
	v_div_fixup_f32 v12, v12, v16, v18
	v_cmp_ngt_f32_e64 s[6:7], |v12|, s22
	s_or_b64 s[20:21], s[6:7], s[20:21]
	s_andn2_b64 exec, exec, s[20:21]
	s_cbranch_execnz .LBB12_40
; %bb.41:
	s_or_b64 exec, exec, s[20:21]
	s_mov_b32 s6, 0x3eb5c63d
	s_mov_b32 s7, 0x3e8483fa
	v_pk_mul_f32 v[2:3], v[16:17], s[6:7]
	v_sub_f32_e32 v2, v2, v3
	v_cndmask_b32_e64 v7, v7, v2, s[10:11]
.LBB12_42:
	s_or_b64 exec, exec, s[18:19]
                                        ; implicit-def: $vgpr17
.LBB12_43:
	s_andn2_saveexec_b64 s[18:19], s[8:9]
	s_cbranch_execz .LBB12_53
; %bb.44:
	s_mov_b32 s6, 0x8f800000
	v_mul_f32_e32 v2, 0xcf800000, v17
	v_cmp_lt_f32_e32 vcc, s6, v17
	v_cndmask_b32_e64 v2, -v17, v2, vcc
	v_sqrt_f32_e32 v3, v2
	v_mul_f32_e32 v7, -2.0, v17
	s_mov_b32 s8, 0x40400000
	v_add_u32_e32 v11, -1, v3
	v_fma_f32 v12, -v11, v3, v2
	v_cmp_ge_f32_e64 s[6:7], 0, v12
	v_add_u32_e32 v12, 1, v3
	v_cndmask_b32_e64 v11, v3, v11, s[6:7]
	v_fma_f32 v3, -v12, v3, v2
	v_cmp_lt_f32_e64 s[6:7], 0, v3
	v_cndmask_b32_e64 v3, v11, v12, s[6:7]
	v_mul_f32_e32 v11, 0x37800000, v3
	v_cndmask_b32_e32 v3, v3, v11, vcc
	v_mov_b32_e32 v11, 0x260
	v_cmp_class_f32_e32 vcc, v2, v11
	v_cndmask_b32_e32 v2, v3, v2, vcc
	v_mul_f32_e32 v3, v7, v2
	v_div_scale_f32 v7, s[6:7], s8, s8, v3
	v_rcp_f32_e32 v11, v7
	s_brev_b32 s6, 18
	v_fma_f32 v12, -v7, v11, 1.0
	v_fmac_f32_e32 v11, v12, v11
	v_div_scale_f32 v12, vcc, v3, s8, v3
	v_mul_f32_e32 v14, v12, v11
	v_fma_f32 v16, -v7, v14, v12
	v_fmac_f32_e32 v14, v16, v11
	v_fma_f32 v7, -v7, v14, v12
	v_div_fmas_f32 v7, v7, v11, v14
	v_div_fixup_f32 v11, v7, s8, v3
	v_add_f32_e32 v3, 0x3f490fdb, v11
	v_and_b32_e32 v7, 0x7fffffff, v3
	v_cmp_nlt_f32_e64 s[20:21], |v3|, s6
	v_lshrrev_b32_e32 v18, 23, v7
                                        ; implicit-def: $vgpr12
                                        ; implicit-def: $vgpr14
	s_and_saveexec_b64 s[6:7], s[20:21]
	s_xor_b64 s[22:23], exec, s[6:7]
	s_cbranch_execz .LBB12_46
; %bb.45:
	v_add_u32_e32 v12, 0xffffff88, v18
	v_not_b32_e32 v14, 63
	v_cmp_lt_u32_e32 vcc, 63, v12
	v_cndmask_b32_e32 v14, 0, v14, vcc
	v_add_u32_e32 v12, v14, v12
	v_not_b32_e32 v14, 31
	v_cmp_lt_u32_e64 s[6:7], 31, v12
	v_cndmask_b32_e64 v16, 0, v14, s[6:7]
	v_add_u32_e32 v12, v16, v12
	v_cmp_lt_u32_e64 s[8:9], 31, v12
	v_cndmask_b32_e64 v14, 0, v14, s[8:9]
	v_add_u32_e32 v12, v14, v12
	v_and_b32_e32 v14, 0x7fffff, v7
	v_or_b32_e32 v14, 0x800000, v14
	s_mov_b32 s10, 0xfe5163ab
	v_mad_u64_u32 v[22:23], s[10:11], v14, s10, 0
	v_mov_b32_e32 v17, 0
	v_mov_b32_e32 v16, v23
	s_mov_b32 s10, 0x3c439041
	v_mad_u64_u32 v[24:25], s[10:11], v14, s10, v[16:17]
	v_mov_b32_e32 v16, v25
	s_mov_b32 s10, 0xdb629599
	v_mad_u64_u32 v[26:27], s[10:11], v14, s10, v[16:17]
	;; [unrolled: 3-line block ×6, first 2 shown]
	v_cndmask_b32_e32 v19, v32, v28, vcc
	v_cndmask_b32_e32 v14, v16, v30, vcc
	;; [unrolled: 1-line block ×3, first 2 shown]
	v_cndmask_b32_e64 v16, v14, v19, s[6:7]
	v_cndmask_b32_e64 v14, v17, v14, s[6:7]
	v_cndmask_b32_e32 v17, v30, v26, vcc
	v_cndmask_b32_e64 v19, v19, v17, s[6:7]
	v_cndmask_b32_e64 v14, v14, v16, s[8:9]
	;; [unrolled: 1-line block ×3, first 2 shown]
	v_sub_u32_e32 v21, 32, v12
	v_alignbit_b32 v23, v14, v16, v21
	v_cmp_eq_u32_e64 s[10:11], 0, v12
	v_cndmask_b32_e64 v12, v23, v14, s[10:11]
	v_cndmask_b32_e32 v14, v28, v24, vcc
	v_cndmask_b32_e64 v17, v17, v14, s[6:7]
	v_cndmask_b32_e64 v19, v19, v17, s[8:9]
	v_alignbit_b32 v23, v16, v19, v21
	v_cndmask_b32_e32 v22, v26, v22, vcc
	v_cndmask_b32_e64 v16, v23, v16, s[10:11]
	v_bfe_u32 v25, v12, 29, 1
	v_cndmask_b32_e64 v14, v14, v22, s[6:7]
	v_alignbit_b32 v23, v12, v16, 30
	v_sub_u32_e32 v27, 0, v25
	v_cndmask_b32_e64 v14, v17, v14, s[8:9]
	v_xor_b32_e32 v28, v23, v27
	v_alignbit_b32 v17, v19, v14, v21
	v_cndmask_b32_e64 v17, v17, v19, s[10:11]
	v_ffbh_u32_e32 v19, v28
	v_add_u32_e32 v19, 1, v19
	v_cmp_ne_u32_e32 vcc, v23, v27
	v_alignbit_b32 v16, v16, v17, 30
	v_cndmask_b32_e32 v19, 33, v19, vcc
	v_alignbit_b32 v14, v17, v14, 30
	v_xor_b32_e32 v16, v16, v27
	v_sub_u32_e32 v21, 32, v19
	v_xor_b32_e32 v14, v14, v27
	v_alignbit_b32 v22, v28, v16, v21
	v_alignbit_b32 v14, v16, v14, v21
	;; [unrolled: 1-line block ×3, first 2 shown]
	v_ffbh_u32_e32 v17, v16
	v_min_u32_e32 v17, 32, v17
	v_lshrrev_b32_e32 v24, 29, v12
	v_sub_u32_e32 v21, 31, v17
	v_alignbit_b32 v14, v16, v14, v21
	v_lshlrev_b32_e32 v16, 31, v24
	v_or_b32_e32 v21, 0x33800000, v16
	v_add_lshl_u32 v17, v17, v19, 23
	v_lshrrev_b32_e32 v14, 9, v14
	v_sub_u32_e32 v17, v21, v17
	v_or_b32_e32 v14, v17, v14
	v_alignbit_b32 v17, v19, v22, 9
	v_or_b32_e32 v16, v17, v16
	v_xor_b32_e32 v16, 1.0, v16
	s_mov_b32 s6, 0x3fc90fda
	v_mul_f32_e32 v17, 0x3fc90fda, v16
	v_fma_f32 v19, v16, s6, -v17
	v_fmac_f32_e32 v19, 0x33a22168, v16
	v_fmac_f32_e32 v19, 0x3fc90fda, v14
	v_lshrrev_b32_e32 v12, 30, v12
	v_add_f32_e32 v14, v17, v19
	v_add_u32_e32 v12, v25, v12
	s_andn2_saveexec_b64 s[6:7], s[22:23]
	s_branch .LBB12_47
.LBB12_46:
	s_andn2_saveexec_b64 s[6:7], s[22:23]
.LBB12_47:
	s_mov_b32 s8, 0x3f22f983
	v_mul_f32_e64 v12, |v3|, s8
	v_rndne_f32_e32 v16, v12
	s_mov_b32 s8, 0xbfc90fda
	v_cvt_i32_f32_e32 v12, v16
	v_fma_f32 v14, v16, s8, |v3|
	v_fmac_f32_e32 v14, 0xb3a22168, v16
	v_fmac_f32_e32 v14, 0xa7c234c4, v16
; %bb.48:
	s_or_b64 exec, exec, s[6:7]
                                        ; implicit-def: $vgpr16
                                        ; implicit-def: $vgpr17
	s_and_saveexec_b64 s[6:7], s[20:21]
	s_xor_b64 s[20:21], exec, s[6:7]
	s_cbranch_execz .LBB12_50
; %bb.49:
	v_add_u32_e32 v16, 0xffffff88, v18
	v_not_b32_e32 v18, 63
	v_cmp_lt_u32_e32 vcc, 63, v16
	v_cndmask_b32_e32 v18, 0, v18, vcc
	v_add_u32_e32 v16, v18, v16
	v_not_b32_e32 v18, 31
	v_cmp_lt_u32_e64 s[6:7], 31, v16
	v_cndmask_b32_e64 v19, 0, v18, s[6:7]
	v_add_u32_e32 v16, v19, v16
	v_cmp_lt_u32_e64 s[8:9], 31, v16
	v_cndmask_b32_e64 v18, 0, v18, s[8:9]
	v_add_u32_e32 v21, v18, v16
	v_and_b32_e32 v16, 0x7fffff, v7
	v_or_b32_e32 v32, 0x800000, v16
	s_mov_b32 s10, 0xfe5163ab
	v_mad_u64_u32 v[18:19], s[10:11], v32, s10, 0
	v_mov_b32_e32 v17, 0
	v_mov_b32_e32 v16, v19
	s_mov_b32 s10, 0x3c439041
	v_mad_u64_u32 v[22:23], s[10:11], v32, s10, v[16:17]
	v_mov_b32_e32 v16, v23
	s_mov_b32 s10, 0xdb629599
	v_mad_u64_u32 v[24:25], s[10:11], v32, s10, v[16:17]
	;; [unrolled: 3-line block ×6, first 2 shown]
	v_cndmask_b32_e32 v19, v30, v26, vcc
	v_cndmask_b32_e32 v16, v16, v28, vcc
	;; [unrolled: 1-line block ×3, first 2 shown]
	v_cndmask_b32_e64 v23, v16, v19, s[6:7]
	v_cndmask_b32_e64 v16, v17, v16, s[6:7]
	v_cndmask_b32_e32 v17, v28, v24, vcc
	v_cndmask_b32_e64 v19, v19, v17, s[6:7]
	v_sub_u32_e32 v25, 32, v21
	v_cmp_eq_u32_e64 s[10:11], 0, v21
	v_cndmask_b32_e32 v21, v26, v22, vcc
	v_cndmask_b32_e64 v16, v16, v23, s[8:9]
	v_cndmask_b32_e64 v23, v23, v19, s[8:9]
	v_cndmask_b32_e64 v17, v17, v21, s[6:7]
	v_alignbit_b32 v27, v16, v23, v25
	v_cndmask_b32_e64 v19, v19, v17, s[8:9]
	v_cndmask_b32_e64 v16, v27, v16, s[10:11]
	v_alignbit_b32 v22, v23, v19, v25
	v_cndmask_b32_e64 v22, v22, v23, s[10:11]
	v_bfe_u32 v27, v16, 29, 1
	v_cndmask_b32_e32 v18, v24, v18, vcc
	v_alignbit_b32 v23, v16, v22, 30
	v_sub_u32_e32 v28, 0, v27
	v_cndmask_b32_e64 v18, v21, v18, s[6:7]
	v_xor_b32_e32 v29, v23, v28
	v_cndmask_b32_e64 v17, v17, v18, s[8:9]
	v_alignbit_b32 v18, v19, v17, v25
	v_ffbh_u32_e32 v21, v29
	v_cndmask_b32_e64 v18, v18, v19, s[10:11]
	v_add_u32_e32 v21, 1, v21
	v_cmp_ne_u32_e32 vcc, v23, v28
	v_alignbit_b32 v19, v22, v18, 30
	v_cndmask_b32_e32 v21, 33, v21, vcc
	v_alignbit_b32 v17, v18, v17, 30
	v_xor_b32_e32 v19, v19, v28
	v_sub_u32_e32 v22, 32, v21
	v_xor_b32_e32 v17, v17, v28
	v_alignbit_b32 v23, v29, v19, v22
	v_alignbit_b32 v17, v19, v17, v22
	;; [unrolled: 1-line block ×3, first 2 shown]
	v_ffbh_u32_e32 v19, v18
	v_min_u32_e32 v19, 32, v19
	v_lshrrev_b32_e32 v26, 29, v16
	v_sub_u32_e32 v22, 31, v19
	v_alignbit_b32 v17, v18, v17, v22
	v_lshlrev_b32_e32 v18, 31, v26
	v_or_b32_e32 v22, 0x33800000, v18
	v_add_lshl_u32 v19, v19, v21, 23
	v_lshrrev_b32_e32 v17, 9, v17
	v_sub_u32_e32 v19, v22, v19
	v_or_b32_e32 v17, v19, v17
	v_alignbit_b32 v19, v21, v23, 9
	v_or_b32_e32 v18, v19, v18
	v_xor_b32_e32 v18, 1.0, v18
	s_mov_b32 s6, 0x3fc90fda
	v_mul_f32_e32 v19, 0x3fc90fda, v18
	v_fma_f32 v21, v18, s6, -v19
	v_fmac_f32_e32 v21, 0x33a22168, v18
	v_fmac_f32_e32 v21, 0x3fc90fda, v17
	v_lshrrev_b32_e32 v16, 30, v16
	v_add_f32_e32 v17, v19, v21
	v_add_u32_e32 v16, v27, v16
	s_andn2_saveexec_b64 s[6:7], s[20:21]
	s_cbranch_execnz .LBB12_51
	s_branch .LBB12_52
.LBB12_50:
	s_andn2_saveexec_b64 s[6:7], s[20:21]
.LBB12_51:
	s_mov_b32 s8, 0x3f22f983
	v_mul_f32_e64 v16, |v3|, s8
	v_rndne_f32_e32 v18, v16
	s_mov_b32 s8, 0xbfc90fda
	v_cvt_i32_f32_e32 v16, v18
	v_fma_f32 v17, v18, s8, |v3|
	v_fmac_f32_e32 v17, 0xb3a22168, v18
	v_fmac_f32_e32 v17, 0xa7c234c4, v18
.LBB12_52:
	s_or_b64 exec, exec, s[6:7]
	v_div_scale_f32 v18, s[6:7], v11, v11, 1.0
	v_rcp_f32_e32 v19, v18
	v_div_scale_f32 v21, vcc, 1.0, v11, 1.0
	v_mov_b32_e32 v26, 0xbab64f3b
	v_fma_f32 v22, -v18, v19, 1.0
	v_fmac_f32_e32 v19, v22, v19
	v_mul_f32_e32 v22, v21, v19
	v_fma_f32 v23, -v18, v22, v21
	v_fmac_f32_e32 v22, v23, v19
	v_fma_f32 v18, -v18, v22, v21
	v_div_fmas_f32 v18, v18, v19, v22
	v_div_fixup_f32 v11, v18, v11, 1.0
	v_mul_f32_e32 v18, v11, v11
	v_mov_b32_e32 v19, 0xbe06db67
	v_fmac_f32_e32 v19, 0, v18
	v_mov_b32_e32 v21, 0xbf205f75
	v_fmac_f32_e32 v21, v18, v19
	;; [unrolled: 2-line block ×18, first 2 shown]
	v_mul_f32_e32 v21, v14, v14
	v_mov_b32_e32 v24, 0x3c0881c4
	v_fmac_f32_e32 v26, 0x37d75334, v21
	v_mov_b32_e32 v27, 0x3d2aabf7
	v_fmac_f32_e32 v24, 0xb94c1982, v21
	v_mov_b32_e32 v25, 0xbe2aaa9d
	v_fma_f32 v26, v21, v26, v27
	v_mov_b32_e32 v28, 0xbf000004
	v_fma_f32 v24, v21, v24, v25
	v_fma_f32 v26, v21, v26, v28
	v_mul_f32_e32 v24, v21, v24
	v_fma_f32 v21, v21, v26, 1.0
	v_and_b32_e32 v26, 1, v12
	v_lshlrev_b32_e32 v12, 30, v12
	v_fmac_f32_e32 v14, v14, v24
	v_cmp_eq_u32_e32 vcc, 0, v26
	v_and_b32_e32 v12, 0x80000000, v12
	v_xor_b32_e32 v7, v7, v3
	v_cndmask_b32_e32 v14, v21, v14, vcc
	v_xor_b32_e32 v7, v7, v12
	v_mul_f32_e32 v12, v18, v22
	v_xor_b32_e32 v7, v7, v14
	v_div_scale_f32 v14, s[6:7], v19, v19, v12
	v_rcp_f32_e32 v21, v14
	s_movk_i32 s8, 0x1f8
	v_mov_b32_e32 v22, 0x7fc00000
	v_cmp_class_f32_e64 s[6:7], v3, s8
	v_cndmask_b32_e64 v3, v22, v7, s[6:7]
	v_fma_f32 v7, -v14, v21, 1.0
	v_fmac_f32_e32 v21, v7, v21
	v_div_scale_f32 v7, vcc, v12, v19, v12
	v_mul_f32_e32 v26, v7, v21
	v_fma_f32 v29, -v14, v26, v7
	v_fmac_f32_e32 v26, v29, v21
	v_fma_f32 v7, -v14, v26, v7
	v_div_fmas_f32 v7, v7, v21, v26
	v_div_fixup_f32 v7, v7, v19, v12
	v_mov_b32_e32 v12, 0x3ca1a92f
	v_fmac_f32_e32 v12, 0, v18
	v_mov_b32_e32 v14, 0x3ec83ea8
	v_fmac_f32_e32 v14, v18, v12
	;; [unrolled: 2-line block ×17, first 2 shown]
	v_mov_b32_e32 v14, 0x3b873823
	s_mov_b32 s8, 0xf800000
	v_fmac_f32_e32 v14, v18, v19
	v_mul_f32_e32 v19, 0x4f800000, v2
	v_cmp_gt_f32_e32 vcc, s8, v2
	v_cndmask_b32_e32 v2, v2, v19, vcc
	v_sqrt_f32_e32 v19, v2
	s_mov_b32 s10, 0x3f106ebb
	v_mov_b32_e32 v21, 0x38d45b0f
	v_fmac_f32_e32 v21, v18, v14
	v_add_u32_e32 v26, -1, v19
	v_fma_f32 v29, -v26, v19, v2
	v_cmp_ge_f32_e64 s[8:9], 0, v29
	v_add_u32_e32 v29, 1, v19
	v_cndmask_b32_e64 v26, v19, v26, s[8:9]
	v_fma_f32 v19, -v29, v19, v2
	v_cmp_lt_f32_e64 s[8:9], 0, v19
	v_cndmask_b32_e64 v19, v26, v29, s[8:9]
	v_mul_f32_e32 v26, 0x37800000, v19
	v_cndmask_b32_e32 v19, v19, v26, vcc
	v_mov_b32_e32 v26, 0x260
	v_cmp_class_f32_e32 vcc, v2, v26
	v_cndmask_b32_e32 v2, v19, v2, vcc
	v_div_scale_f32 v19, s[8:9], v2, v2, s10
	v_rcp_f32_e32 v26, v19
	v_mov_b32_e32 v14, 0x359d422f
	v_fmac_f32_e32 v14, v18, v21
	v_mov_b32_e32 v21, 0x31a8fe3a
	v_fmac_f32_e32 v21, v18, v14
	v_fma_f32 v14, -v19, v26, 1.0
	v_fmac_f32_e32 v26, v14, v26
	v_div_scale_f32 v14, vcc, s10, v2, s10
	v_mul_f32_e32 v18, v14, v26
	v_fma_f32 v29, -v19, v18, v14
	v_fmac_f32_e32 v18, v29, v26
	v_fma_f32 v14, -v19, v18, v14
	v_div_fmas_f32 v14, v14, v26, v18
	v_mov_b32_e32 v23, 0x3c0881c4
	v_div_fixup_f32 v2, v14, v2, s10
	v_mul_f32_e32 v14, v17, v17
	v_mov_b32_e32 v24, 0xbab64f3b
	v_fmac_f32_e32 v23, 0xb94c1982, v14
	v_fmac_f32_e32 v25, v14, v23
	;; [unrolled: 1-line block ×3, first 2 shown]
	v_mul_f32_e32 v18, v14, v25
	v_fmac_f32_e32 v27, v14, v24
	v_fmac_f32_e32 v17, v17, v18
	;; [unrolled: 1-line block ×3, first 2 shown]
	v_and_b32_e32 v18, 1, v16
	v_mul_f32_e32 v11, v11, v12
	v_fma_f32 v14, v14, v28, 1.0
	v_cmp_eq_u32_e32 vcc, 0, v18
	v_div_scale_f32 v12, s[8:9], v21, v21, v11
	v_cndmask_b32_e64 v14, -v17, v14, vcc
	v_rcp_f32_e32 v17, v12
	v_lshlrev_b32_e32 v16, 30, v16
	v_and_b32_e32 v16, 0x80000000, v16
	v_xor_b32_e32 v14, v16, v14
	v_fma_f32 v16, -v12, v17, 1.0
	v_fmac_f32_e32 v17, v16, v17
	v_div_scale_f32 v16, vcc, v11, v21, v11
	v_mul_f32_e32 v18, v16, v17
	v_fma_f32 v19, -v12, v18, v16
	v_fmac_f32_e32 v18, v19, v17
	v_fma_f32 v12, -v12, v18, v16
	v_div_fmas_f32 v12, v12, v17, v18
	v_cndmask_b32_e64 v14, v22, v14, s[6:7]
	v_div_fixup_f32 v11, v12, v21, v11
	v_add_f32_e32 v7, 1.0, v7
	v_mul_f32_e32 v11, v11, v14
	v_fma_f32 v3, v7, v3, -v11
	v_mul_f32_e32 v7, v2, v3
.LBB12_53:
	s_or_b64 exec, exec, s[18:19]
.LBB12_54:
	s_or_b64 exec, exec, s[16:17]
.LBB12_55:
	s_or_b64 exec, exec, s[14:15]
.LBB12_56:
	s_or_b64 exec, exec, s[12:13]
	v_add_u32_e32 v2, 0x200, v5
	v_cmp_lt_i32_e32 vcc, v2, v4
	s_and_saveexec_b64 s[12:13], vcc
	s_cbranch_execz .LBB12_80
; %bb.57:
	s_mov_b32 s6, 0x7f800000
	s_waitcnt vmcnt(0) lgkmcnt(0)
	v_cmp_neq_f32_e64 s[6:7], |v15|, s6
	v_mov_b32_e32 v8, 0x7fc00000
	s_and_saveexec_b64 s[14:15], s[6:7]
	s_cbranch_execz .LBB12_79
; %bb.58:
	s_mov_b32 s6, 0x42cfc8b4
	v_cmp_nlt_f32_e32 vcc, s6, v15
	v_mov_b32_e32 v8, 0
	s_and_saveexec_b64 s[16:17], vcc
	s_cbranch_execz .LBB12_78
; %bb.59:
	s_mov_b32 s6, 0xc005c28f
	v_cmp_ngt_f32_e32 vcc, s6, v15
	s_and_saveexec_b64 s[6:7], vcc
	s_xor_b64 s[8:9], exec, s[6:7]
	s_cbranch_execz .LBB12_67
; %bb.60:
	s_mov_b32 s6, 0x4005c28f
	v_cmp_nle_f32_e64 s[10:11], s6, v15
	v_cmp_le_f32_e32 vcc, s6, v15
	v_mov_b32_e32 v8, 0
	s_mov_b64 s[6:7], s[10:11]
	s_and_saveexec_b64 s[18:19], vcc
	s_cbranch_execz .LBB12_62
; %bb.61:
	s_mov_b32 s20, 0xf800000
	v_mul_f32_e32 v2, 0x4f800000, v15
	v_cmp_gt_f32_e32 vcc, s20, v15
	v_cndmask_b32_e32 v2, v15, v2, vcc
	v_sqrt_f32_e32 v3, v2
	v_add_f32_e32 v8, v15, v15
	s_mov_b32 s21, 0x40400000
	v_add_u32_e32 v11, -1, v3
	v_fma_f32 v12, -v11, v3, v2
	v_cmp_ge_f32_e64 s[6:7], 0, v12
	v_add_u32_e32 v12, 1, v3
	v_cndmask_b32_e64 v11, v3, v11, s[6:7]
	v_fma_f32 v3, -v12, v3, v2
	v_cmp_lt_f32_e64 s[6:7], 0, v3
	v_cndmask_b32_e64 v3, v11, v12, s[6:7]
	v_mul_f32_e32 v11, 0x37800000, v3
	v_cndmask_b32_e32 v3, v3, v11, vcc
	v_mov_b32_e32 v11, 0x260
	v_cmp_class_f32_e32 vcc, v2, v11
	v_cndmask_b32_e32 v2, v3, v2, vcc
	v_mul_f32_e32 v3, v8, v2
	v_div_scale_f32 v8, s[6:7], s21, s21, v3
	v_rcp_f32_e32 v12, v8
	v_fma_f32 v14, -v8, v12, 1.0
	v_fmac_f32_e32 v12, v14, v12
	v_div_scale_f32 v14, vcc, v3, s21, v3
	v_mul_f32_e32 v16, v14, v12
	v_fma_f32 v17, -v8, v16, v14
	v_fmac_f32_e32 v16, v17, v12
	v_fma_f32 v8, -v8, v16, v14
	v_div_fmas_f32 v8, v8, v12, v16
	v_div_fixup_f32 v8, v8, s21, v3
	v_div_scale_f32 v3, s[6:7], v8, v8, 1.0
	v_rcp_f32_e32 v12, v3
	v_fma_f32 v14, -v3, v12, 1.0
	v_fmac_f32_e32 v12, v14, v12
	v_div_scale_f32 v14, vcc, 1.0, v8, 1.0
	v_mul_f32_e32 v16, v14, v12
	v_fma_f32 v17, -v3, v16, v14
	v_fmac_f32_e32 v16, v17, v12
	v_fma_f32 v3, -v3, v16, v14
	v_div_fmas_f32 v3, v3, v12, v16
	v_div_fixup_f32 v3, v3, v8, 1.0
	v_mov_b32_e32 v12, 0x3eb16d71
	v_fmac_f32_e32 v12, 0, v3
	v_mov_b32_e32 v14, 0x41401f1c
	v_fmac_f32_e32 v14, v3, v12
	;; [unrolled: 2-line block ×14, first 2 shown]
	v_fma_f32 v14, v3, v14, 1.0
	v_fma_f32 v3, v3, v12, 1.0
	v_div_scale_f32 v12, s[6:7], v14, v14, v3
	v_rcp_f32_e32 v16, v12
	v_cmp_gt_f32_e64 s[6:7], s20, v2
	v_fma_f32 v17, -v12, v16, 1.0
	v_fmac_f32_e32 v16, v17, v16
	v_div_scale_f32 v17, vcc, v3, v14, v3
	v_mul_f32_e32 v18, v17, v16
	v_fma_f32 v19, -v12, v18, v17
	v_fmac_f32_e32 v18, v19, v16
	v_fma_f32 v12, -v12, v18, v17
	v_mul_f32_e32 v17, 0x4f800000, v2
	v_cndmask_b32_e64 v17, v2, v17, s[6:7]
	v_sqrt_f32_e32 v19, v17
	v_div_fmas_f32 v2, v12, v16, v18
	v_div_fixup_f32 v2, v2, v14, v3
	v_add_u32_e32 v3, -1, v19
	v_fma_f32 v12, -v3, v19, v17
	v_cmp_ge_f32_e32 vcc, 0, v12
	v_add_u32_e32 v12, 1, v19
	v_fma_f32 v14, -v12, v19, v17
	v_cndmask_b32_e32 v3, v19, v3, vcc
	v_cmp_lt_f32_e32 vcc, 0, v14
	v_cndmask_b32_e32 v3, v3, v12, vcc
	v_mul_f32_e32 v12, 0x37800000, v3
	v_cndmask_b32_e64 v3, v3, v12, s[6:7]
	v_cmp_class_f32_e32 vcc, v17, v11
	s_mov_b32 s6, 0x3fb8aa3b
	v_mul_f32_e32 v11, 0x3fb8aa3b, v8
	v_fma_f32 v12, v8, s6, -v11
	v_rndne_f32_e32 v14, v11
	v_fmac_f32_e32 v12, 0x32a5705f, v8
	v_sub_f32_e32 v11, v11, v14
	v_add_f32_e32 v11, v11, v12
	v_exp_f32_e32 v11, v11
	v_cvt_i32_f32_e32 v12, v14
	s_mov_b32 s6, 0x3f106ebb
	v_cndmask_b32_e32 v3, v3, v17, vcc
	s_mov_b32 s7, 2.0
	v_pk_mul_f32 v[2:3], v[2:3], s[6:7]
	s_mov_b32 s6, 0xc2ce8ed0
	v_ldexp_f32 v11, v11, v12
	v_cmp_ngt_f32_e32 vcc, s6, v8
	s_mov_b32 s6, 0x42b17218
	v_cndmask_b32_e32 v11, 0, v11, vcc
	v_mov_b32_e32 v12, 0x7f800000
	v_cmp_nlt_f32_e32 vcc, s6, v8
	v_cndmask_b32_e32 v8, v12, v11, vcc
	v_mul_f32_e32 v3, v3, v8
	v_div_scale_f32 v8, s[6:7], v3, v3, v2
	v_rcp_f32_e32 v11, v8
	s_mov_b32 s6, 0x41052018
	v_fma_f32 v12, -v8, v11, 1.0
	v_fmac_f32_e32 v11, v12, v11
	v_div_scale_f32 v12, vcc, v2, v3, v2
	v_mul_f32_e32 v14, v12, v11
	v_fma_f32 v16, -v8, v14, v12
	v_fmac_f32_e32 v14, v16, v11
	v_fma_f32 v8, -v8, v14, v12
	v_div_fmas_f32 v8, v8, v11, v14
	v_cmp_nlt_f32_e32 vcc, s6, v15
	s_andn2_b64 s[6:7], s[10:11], exec
	s_and_b64 s[20:21], vcc, exec
	v_div_fixup_f32 v8, v8, v3, v2
	s_or_b64 s[6:7], s[6:7], s[20:21]
.LBB12_62:
	s_or_b64 exec, exec, s[18:19]
	s_and_saveexec_b64 s[18:19], s[6:7]
	s_cbranch_execz .LBB12_66
; %bb.63:
	v_mul_f32_e32 v2, v15, v15
	v_mul_f32_e32 v2, v15, v2
	v_mov_b32_e32 v11, 1.0
	v_mov_b32_e32 v3, v2
	s_mov_b64 s[20:21], 0
	s_brev_b32 s22, 44
	v_mov_b32_e32 v14, v11
	v_mov_b32_e32 v16, 1.0
	v_mov_b32_e32 v17, v15
.LBB12_64:                              ; =>This Inner Loop Header: Depth=1
	v_pk_mul_f32 v[16:17], v[2:3], v[16:17]
	v_add_f32_e32 v12, 1.0, v11
	v_add_f32_e32 v18, 1.0, v12
	v_div_scale_f32 v19, s[6:7], v12, v12, v16
	v_rcp_f32_e32 v22, v19
	v_div_scale_f32 v23, s[6:7], v18, v18, v17
	v_rcp_f32_e32 v25, v23
	v_fma_f32 v26, -v19, v22, 1.0
	v_div_scale_f32 v21, vcc, v16, v12, v16
	v_fmac_f32_e32 v22, v26, v22
	v_fma_f32 v26, -v23, v25, 1.0
	v_div_scale_f32 v24, s[6:7], v17, v18, v17
	v_mul_f32_e32 v27, v21, v22
	v_fmac_f32_e32 v25, v26, v25
	v_fma_f32 v26, -v19, v27, v21
	v_mul_f32_e32 v28, v24, v25
	v_fmac_f32_e32 v27, v26, v22
	v_fma_f32 v26, -v23, v28, v24
	v_fma_f32 v19, -v19, v27, v21
	v_fmac_f32_e32 v28, v26, v25
	v_div_fmas_f32 v19, v19, v22, v27
	v_fma_f32 v21, -v23, v28, v24
	s_mov_b64 vcc, s[6:7]
	v_div_fixup_f32 v12, v19, v12, v16
	v_div_fmas_f32 v16, v21, v25, v28
	v_add_f32_e32 v11, 1.0, v18
	v_div_fixup_f32 v16, v16, v18, v17
	v_div_scale_f32 v17, s[6:7], v18, v18, v12
	v_div_scale_f32 v21, s[26:27], v11, v11, v16
	v_rcp_f32_e32 v23, v17
	v_rcp_f32_e32 v24, v21
	v_div_scale_f32 v19, s[6:7], v12, v18, v12
	v_fma_f32 v25, -v17, v23, 1.0
	v_fma_f32 v26, -v21, v24, 1.0
	v_div_scale_f32 v22, vcc, v16, v11, v16
	v_fmac_f32_e32 v23, v25, v23
	v_fmac_f32_e32 v24, v26, v24
	v_mul_f32_e32 v25, v19, v23
	v_mul_f32_e32 v26, v22, v24
	v_fma_f32 v27, -v17, v25, v19
	v_fma_f32 v28, -v21, v26, v22
	v_fmac_f32_e32 v25, v27, v23
	v_fmac_f32_e32 v26, v28, v24
	v_fma_f32 v19, -v17, v25, v19
	v_fma_f32 v17, -v21, v26, v22
	v_div_fmas_f32 v17, v17, v24, v26
	s_mov_b64 vcc, s[6:7]
	v_div_fixup_f32 v17, v17, v11, v16
	v_div_fmas_f32 v16, v19, v23, v25
	v_div_fixup_f32 v16, v16, v18, v12
	v_pk_add_f32 v[14:15], v[14:15], v[16:17]
	v_div_scale_f32 v12, s[6:7], v14, v14, v16
	v_rcp_f32_e32 v18, v12
	v_div_scale_f32 v19, vcc, v16, v14, v16
	v_fma_f32 v21, -v12, v18, 1.0
	v_fmac_f32_e32 v18, v21, v18
	v_mul_f32_e32 v21, v19, v18
	v_fma_f32 v22, -v12, v21, v19
	v_fmac_f32_e32 v21, v22, v18
	v_fma_f32 v12, -v12, v21, v19
	v_div_fmas_f32 v12, v12, v18, v21
	v_div_fixup_f32 v12, v12, v14, v16
	v_cmp_ngt_f32_e64 s[6:7], |v12|, s22
	s_or_b64 s[20:21], s[6:7], s[20:21]
	s_andn2_b64 exec, exec, s[20:21]
	s_cbranch_execnz .LBB12_64
; %bb.65:
	s_or_b64 exec, exec, s[20:21]
	s_mov_b32 s6, 0x3eb5c63d
	s_mov_b32 s7, 0x3e8483fa
	v_pk_mul_f32 v[2:3], v[14:15], s[6:7]
	v_sub_f32_e32 v2, v2, v3
	v_cndmask_b32_e64 v8, v8, v2, s[10:11]
.LBB12_66:
	s_or_b64 exec, exec, s[18:19]
                                        ; implicit-def: $vgpr15
.LBB12_67:
	s_andn2_saveexec_b64 s[18:19], s[8:9]
	s_cbranch_execz .LBB12_77
; %bb.68:
	s_mov_b32 s6, 0x8f800000
	v_mul_f32_e32 v2, 0xcf800000, v15
	v_cmp_lt_f32_e32 vcc, s6, v15
	v_cndmask_b32_e64 v2, -v15, v2, vcc
	v_sqrt_f32_e32 v3, v2
	v_mul_f32_e32 v8, -2.0, v15
	s_mov_b32 s8, 0x40400000
	v_add_u32_e32 v11, -1, v3
	v_fma_f32 v12, -v11, v3, v2
	v_cmp_ge_f32_e64 s[6:7], 0, v12
	v_add_u32_e32 v12, 1, v3
	v_cndmask_b32_e64 v11, v3, v11, s[6:7]
	v_fma_f32 v3, -v12, v3, v2
	v_cmp_lt_f32_e64 s[6:7], 0, v3
	v_cndmask_b32_e64 v3, v11, v12, s[6:7]
	v_mul_f32_e32 v11, 0x37800000, v3
	v_cndmask_b32_e32 v3, v3, v11, vcc
	v_mov_b32_e32 v11, 0x260
	v_cmp_class_f32_e32 vcc, v2, v11
	v_cndmask_b32_e32 v2, v3, v2, vcc
	v_mul_f32_e32 v3, v8, v2
	v_div_scale_f32 v8, s[6:7], s8, s8, v3
	v_rcp_f32_e32 v11, v8
	s_brev_b32 s6, 18
	v_fma_f32 v12, -v8, v11, 1.0
	v_fmac_f32_e32 v11, v12, v11
	v_div_scale_f32 v12, vcc, v3, s8, v3
	v_mul_f32_e32 v14, v12, v11
	v_fma_f32 v15, -v8, v14, v12
	v_fmac_f32_e32 v14, v15, v11
	v_fma_f32 v8, -v8, v14, v12
	v_div_fmas_f32 v8, v8, v11, v14
	v_div_fixup_f32 v11, v8, s8, v3
	v_add_f32_e32 v3, 0x3f490fdb, v11
	v_and_b32_e32 v8, 0x7fffffff, v3
	v_cmp_nlt_f32_e64 s[20:21], |v3|, s6
	v_lshrrev_b32_e32 v17, 23, v8
                                        ; implicit-def: $vgpr12
                                        ; implicit-def: $vgpr14
	s_and_saveexec_b64 s[6:7], s[20:21]
	s_xor_b64 s[22:23], exec, s[6:7]
	s_cbranch_execz .LBB12_70
; %bb.69:
	v_add_u32_e32 v12, 0xffffff88, v17
	v_not_b32_e32 v14, 63
	v_cmp_lt_u32_e32 vcc, 63, v12
	v_cndmask_b32_e32 v14, 0, v14, vcc
	v_add_u32_e32 v12, v14, v12
	v_not_b32_e32 v14, 31
	v_cmp_lt_u32_e64 s[6:7], 31, v12
	v_cndmask_b32_e64 v16, 0, v14, s[6:7]
	v_add_u32_e32 v12, v16, v12
	v_cmp_lt_u32_e64 s[8:9], 31, v12
	v_cndmask_b32_e64 v14, 0, v14, s[8:9]
	v_add_u32_e32 v12, v14, v12
	v_and_b32_e32 v14, 0x7fffff, v8
	v_or_b32_e32 v16, 0x800000, v14
	s_mov_b32 s10, 0xfe5163ab
	v_mad_u64_u32 v[18:19], s[10:11], v16, s10, 0
	v_mov_b32_e32 v15, 0
	v_mov_b32_e32 v14, v19
	s_mov_b32 s10, 0x3c439041
	v_mad_u64_u32 v[22:23], s[10:11], v16, s10, v[14:15]
	v_mov_b32_e32 v14, v23
	s_mov_b32 s10, 0xdb629599
	v_mad_u64_u32 v[24:25], s[10:11], v16, s10, v[14:15]
	;; [unrolled: 3-line block ×6, first 2 shown]
	v_cndmask_b32_e32 v19, v30, v26, vcc
	v_cndmask_b32_e32 v14, v14, v28, vcc
	;; [unrolled: 1-line block ×3, first 2 shown]
	v_cndmask_b32_e64 v16, v14, v19, s[6:7]
	v_cndmask_b32_e64 v14, v15, v14, s[6:7]
	v_cndmask_b32_e32 v15, v28, v24, vcc
	v_cndmask_b32_e64 v19, v19, v15, s[6:7]
	v_cndmask_b32_e64 v14, v14, v16, s[8:9]
	;; [unrolled: 1-line block ×3, first 2 shown]
	v_sub_u32_e32 v21, 32, v12
	v_alignbit_b32 v23, v14, v16, v21
	v_cmp_eq_u32_e64 s[10:11], 0, v12
	v_cndmask_b32_e64 v12, v23, v14, s[10:11]
	v_cndmask_b32_e32 v14, v26, v22, vcc
	v_cndmask_b32_e64 v15, v15, v14, s[6:7]
	v_cndmask_b32_e64 v19, v19, v15, s[8:9]
	v_alignbit_b32 v22, v16, v19, v21
	v_cndmask_b32_e64 v16, v22, v16, s[10:11]
	v_bfe_u32 v25, v12, 29, 1
	v_cndmask_b32_e32 v18, v24, v18, vcc
	v_alignbit_b32 v22, v12, v16, 30
	v_sub_u32_e32 v26, 0, v25
	v_cndmask_b32_e64 v14, v14, v18, s[6:7]
	v_xor_b32_e32 v27, v22, v26
	v_cndmask_b32_e64 v14, v15, v14, s[8:9]
	v_alignbit_b32 v15, v19, v14, v21
	v_ffbh_u32_e32 v18, v27
	v_cndmask_b32_e64 v15, v15, v19, s[10:11]
	v_add_u32_e32 v18, 1, v18
	v_cmp_ne_u32_e32 vcc, v22, v26
	v_alignbit_b32 v16, v16, v15, 30
	v_cndmask_b32_e32 v18, 33, v18, vcc
	v_alignbit_b32 v14, v15, v14, 30
	v_xor_b32_e32 v16, v16, v26
	v_sub_u32_e32 v19, 32, v18
	v_xor_b32_e32 v14, v14, v26
	v_alignbit_b32 v21, v27, v16, v19
	v_alignbit_b32 v14, v16, v14, v19
	;; [unrolled: 1-line block ×3, first 2 shown]
	v_ffbh_u32_e32 v16, v15
	v_min_u32_e32 v16, 32, v16
	v_lshrrev_b32_e32 v23, 29, v12
	v_sub_u32_e32 v19, 31, v16
	v_alignbit_b32 v14, v15, v14, v19
	v_lshlrev_b32_e32 v15, 31, v23
	v_or_b32_e32 v19, 0x33800000, v15
	v_add_lshl_u32 v16, v16, v18, 23
	v_lshrrev_b32_e32 v14, 9, v14
	v_sub_u32_e32 v16, v19, v16
	v_or_b32_e32 v14, v16, v14
	v_alignbit_b32 v16, v18, v21, 9
	v_or_b32_e32 v15, v16, v15
	v_xor_b32_e32 v15, 1.0, v15
	s_mov_b32 s6, 0x3fc90fda
	v_mul_f32_e32 v16, 0x3fc90fda, v15
	v_fma_f32 v18, v15, s6, -v16
	v_fmac_f32_e32 v18, 0x33a22168, v15
	v_fmac_f32_e32 v18, 0x3fc90fda, v14
	v_lshrrev_b32_e32 v12, 30, v12
	v_add_f32_e32 v14, v16, v18
	v_add_u32_e32 v12, v25, v12
	s_andn2_saveexec_b64 s[6:7], s[22:23]
	s_branch .LBB12_71
.LBB12_70:
	s_andn2_saveexec_b64 s[6:7], s[22:23]
.LBB12_71:
	s_mov_b32 s8, 0x3f22f983
	v_mul_f32_e64 v12, |v3|, s8
	v_rndne_f32_e32 v15, v12
	s_mov_b32 s8, 0xbfc90fda
	v_cvt_i32_f32_e32 v12, v15
	v_fma_f32 v14, v15, s8, |v3|
	v_fmac_f32_e32 v14, 0xb3a22168, v15
	v_fmac_f32_e32 v14, 0xa7c234c4, v15
; %bb.72:
	s_or_b64 exec, exec, s[6:7]
                                        ; implicit-def: $vgpr15
                                        ; implicit-def: $vgpr16
	s_and_saveexec_b64 s[6:7], s[20:21]
	s_xor_b64 s[20:21], exec, s[6:7]
	s_cbranch_execz .LBB12_74
; %bb.73:
	v_add_u32_e32 v15, 0xffffff88, v17
	v_not_b32_e32 v16, 63
	v_cmp_lt_u32_e32 vcc, 63, v15
	v_cndmask_b32_e32 v16, 0, v16, vcc
	v_add_u32_e32 v15, v16, v15
	v_not_b32_e32 v16, 31
	v_cmp_lt_u32_e64 s[6:7], 31, v15
	v_cndmask_b32_e64 v18, 0, v16, s[6:7]
	v_add_u32_e32 v15, v18, v15
	v_cmp_lt_u32_e64 s[8:9], 31, v15
	v_cndmask_b32_e64 v16, 0, v16, s[8:9]
	v_add_u32_e32 v15, v16, v15
	v_and_b32_e32 v16, 0x7fffff, v8
	v_or_b32_e32 v21, 0x800000, v16
	s_mov_b32 s10, 0xfe5163ab
	v_mad_u64_u32 v[18:19], s[10:11], v21, s10, 0
	v_mov_b32_e32 v17, 0
	v_mov_b32_e32 v16, v19
	s_mov_b32 s10, 0x3c439041
	v_mad_u64_u32 v[22:23], s[10:11], v21, s10, v[16:17]
	v_mov_b32_e32 v16, v23
	s_mov_b32 s10, 0xdb629599
	v_mad_u64_u32 v[24:25], s[10:11], v21, s10, v[16:17]
	;; [unrolled: 3-line block ×6, first 2 shown]
	v_cndmask_b32_e32 v19, v30, v26, vcc
	v_cndmask_b32_e32 v16, v16, v28, vcc
	;; [unrolled: 1-line block ×3, first 2 shown]
	v_cndmask_b32_e64 v21, v16, v19, s[6:7]
	v_cndmask_b32_e64 v16, v17, v16, s[6:7]
	v_cndmask_b32_e32 v17, v28, v24, vcc
	v_cndmask_b32_e64 v19, v19, v17, s[6:7]
	v_cndmask_b32_e64 v16, v16, v21, s[8:9]
	;; [unrolled: 1-line block ×3, first 2 shown]
	v_sub_u32_e32 v23, 32, v15
	v_alignbit_b32 v25, v16, v21, v23
	v_cmp_eq_u32_e64 s[10:11], 0, v15
	v_cndmask_b32_e64 v15, v25, v16, s[10:11]
	v_cndmask_b32_e32 v16, v26, v22, vcc
	v_cndmask_b32_e64 v17, v17, v16, s[6:7]
	v_cndmask_b32_e64 v19, v19, v17, s[8:9]
	v_alignbit_b32 v22, v21, v19, v23
	v_cndmask_b32_e32 v18, v24, v18, vcc
	v_cndmask_b32_e64 v21, v22, v21, s[10:11]
	v_bfe_u32 v26, v15, 29, 1
	v_cndmask_b32_e64 v16, v16, v18, s[6:7]
	v_alignbit_b32 v22, v15, v21, 30
	v_sub_u32_e32 v27, 0, v26
	v_cndmask_b32_e64 v16, v17, v16, s[8:9]
	v_xor_b32_e32 v28, v22, v27
	v_alignbit_b32 v17, v19, v16, v23
	v_cndmask_b32_e64 v17, v17, v19, s[10:11]
	v_ffbh_u32_e32 v19, v28
	v_add_u32_e32 v19, 1, v19
	v_cmp_ne_u32_e32 vcc, v22, v27
	v_alignbit_b32 v18, v21, v17, 30
	v_cndmask_b32_e32 v19, 33, v19, vcc
	v_alignbit_b32 v16, v17, v16, 30
	v_xor_b32_e32 v18, v18, v27
	v_sub_u32_e32 v21, 32, v19
	v_xor_b32_e32 v16, v16, v27
	v_alignbit_b32 v22, v28, v18, v21
	v_alignbit_b32 v16, v18, v16, v21
	;; [unrolled: 1-line block ×3, first 2 shown]
	v_ffbh_u32_e32 v18, v17
	v_min_u32_e32 v18, 32, v18
	v_lshrrev_b32_e32 v25, 29, v15
	v_sub_u32_e32 v21, 31, v18
	v_alignbit_b32 v16, v17, v16, v21
	v_lshlrev_b32_e32 v17, 31, v25
	v_or_b32_e32 v21, 0x33800000, v17
	v_add_lshl_u32 v18, v18, v19, 23
	v_lshrrev_b32_e32 v16, 9, v16
	v_sub_u32_e32 v18, v21, v18
	v_or_b32_e32 v16, v18, v16
	v_alignbit_b32 v18, v19, v22, 9
	v_or_b32_e32 v17, v18, v17
	v_xor_b32_e32 v17, 1.0, v17
	s_mov_b32 s6, 0x3fc90fda
	v_mul_f32_e32 v18, 0x3fc90fda, v17
	v_fma_f32 v19, v17, s6, -v18
	v_fmac_f32_e32 v19, 0x33a22168, v17
	v_fmac_f32_e32 v19, 0x3fc90fda, v16
	v_lshrrev_b32_e32 v15, 30, v15
	v_add_f32_e32 v16, v18, v19
	v_add_u32_e32 v15, v26, v15
	s_andn2_saveexec_b64 s[6:7], s[20:21]
	s_cbranch_execnz .LBB12_75
	s_branch .LBB12_76
.LBB12_74:
	s_andn2_saveexec_b64 s[6:7], s[20:21]
.LBB12_75:
	s_mov_b32 s8, 0x3f22f983
	v_mul_f32_e64 v15, |v3|, s8
	v_rndne_f32_e32 v17, v15
	s_mov_b32 s8, 0xbfc90fda
	v_cvt_i32_f32_e32 v15, v17
	v_fma_f32 v16, v17, s8, |v3|
	v_fmac_f32_e32 v16, 0xb3a22168, v17
	v_fmac_f32_e32 v16, 0xa7c234c4, v17
.LBB12_76:
	s_or_b64 exec, exec, s[6:7]
	v_div_scale_f32 v17, s[6:7], v11, v11, 1.0
	v_rcp_f32_e32 v18, v17
	v_div_scale_f32 v19, vcc, 1.0, v11, 1.0
	v_mov_b32_e32 v25, 0xbab64f3b
	v_fma_f32 v21, -v17, v18, 1.0
	v_fmac_f32_e32 v18, v21, v18
	v_mul_f32_e32 v21, v19, v18
	v_fma_f32 v22, -v17, v21, v19
	v_fmac_f32_e32 v21, v22, v18
	v_fma_f32 v17, -v17, v21, v19
	v_div_fmas_f32 v17, v17, v18, v21
	v_div_fixup_f32 v11, v17, v11, 1.0
	v_mul_f32_e32 v17, v11, v11
	v_mov_b32_e32 v18, 0xbe06db67
	v_fmac_f32_e32 v18, 0, v17
	v_mov_b32_e32 v19, 0xbf205f75
	v_fmac_f32_e32 v19, v17, v18
	;; [unrolled: 2-line block ×18, first 2 shown]
	v_mul_f32_e32 v19, v14, v14
	v_mov_b32_e32 v23, 0x3c0881c4
	v_fmac_f32_e32 v25, 0x37d75334, v19
	v_mov_b32_e32 v26, 0x3d2aabf7
	v_fmac_f32_e32 v23, 0xb94c1982, v19
	v_mov_b32_e32 v24, 0xbe2aaa9d
	v_fma_f32 v25, v19, v25, v26
	v_mov_b32_e32 v27, 0xbf000004
	v_fma_f32 v23, v19, v23, v24
	v_fma_f32 v25, v19, v25, v27
	v_mul_f32_e32 v23, v19, v23
	v_fma_f32 v19, v19, v25, 1.0
	v_and_b32_e32 v25, 1, v12
	v_lshlrev_b32_e32 v12, 30, v12
	v_fmac_f32_e32 v14, v14, v23
	v_cmp_eq_u32_e32 vcc, 0, v25
	v_and_b32_e32 v12, 0x80000000, v12
	v_xor_b32_e32 v8, v8, v3
	v_cndmask_b32_e32 v14, v19, v14, vcc
	v_xor_b32_e32 v8, v8, v12
	v_mul_f32_e32 v12, v17, v21
	v_xor_b32_e32 v8, v8, v14
	v_div_scale_f32 v14, s[6:7], v18, v18, v12
	v_rcp_f32_e32 v19, v14
	s_movk_i32 s8, 0x1f8
	v_mov_b32_e32 v21, 0x7fc00000
	v_cmp_class_f32_e64 s[6:7], v3, s8
	v_cndmask_b32_e64 v3, v21, v8, s[6:7]
	v_fma_f32 v8, -v14, v19, 1.0
	v_fmac_f32_e32 v19, v8, v19
	v_div_scale_f32 v8, vcc, v12, v18, v12
	v_mul_f32_e32 v25, v8, v19
	v_fma_f32 v28, -v14, v25, v8
	v_fmac_f32_e32 v25, v28, v19
	v_fma_f32 v8, -v14, v25, v8
	v_div_fmas_f32 v8, v8, v19, v25
	v_div_fixup_f32 v8, v8, v18, v12
	v_mov_b32_e32 v12, 0x3ca1a92f
	v_fmac_f32_e32 v12, 0, v17
	v_mov_b32_e32 v14, 0x3ec83ea8
	v_fmac_f32_e32 v14, v17, v12
	v_mov_b32_e32 v12, 0x3f886c1a
	v_fmac_f32_e32 v12, v17, v14
	v_mov_b32_e32 v14, 0x3f706d65
	v_fmac_f32_e32 v14, v17, v12
	v_mov_b32_e32 v12, 0x3eb3f34e
	v_fmac_f32_e32 v12, v17, v14
	v_mov_b32_e32 v14, 0x3d81d209
	v_fmac_f32_e32 v14, v17, v12
	v_mov_b32_e32 v12, 0x3bbff4d0
	v_fmac_f32_e32 v12, v17, v14
	v_mov_b32_e32 v14, 0x39944bb3
	v_fmac_f32_e32 v14, v17, v12
	v_mov_b32_e32 v12, 0x36ea79eb
	v_fmac_f32_e32 v12, v17, v14
	v_mov_b32_e32 v14, 0x33ae5496
	v_fmac_f32_e32 v14, v17, v12
	v_mov_b32_e32 v12, 0x2fbbc524
	v_fmac_f32_e32 v12, v17, v14
	v_mov_b32_e32 v14, 0x4114f160
	v_fmac_f32_e32 v14, 0, v17
	v_mov_b32_e32 v18, 0x419eaeae
	v_fmac_f32_e32 v18, v17, v14
	v_mov_b32_e32 v14, 0x417908dc
	v_fmac_f32_e32 v14, v17, v18
	v_mov_b32_e32 v18, 0x40af4271
	v_fmac_f32_e32 v18, v17, v14
	v_mov_b32_e32 v14, 0x3f744c96
	v_fmac_f32_e32 v14, v17, v18
	v_mov_b32_e32 v18, 0x3db110ef
	v_fmac_f32_e32 v18, v17, v14
	v_mov_b32_e32 v14, 0x3b873823
	s_mov_b32 s8, 0xf800000
	v_fmac_f32_e32 v14, v17, v18
	v_mul_f32_e32 v18, 0x4f800000, v2
	v_cmp_gt_f32_e32 vcc, s8, v2
	v_cndmask_b32_e32 v2, v2, v18, vcc
	v_sqrt_f32_e32 v18, v2
	s_mov_b32 s10, 0x3f106ebb
	v_mov_b32_e32 v19, 0x38d45b0f
	v_fmac_f32_e32 v19, v17, v14
	v_add_u32_e32 v25, -1, v18
	v_fma_f32 v28, -v25, v18, v2
	v_cmp_ge_f32_e64 s[8:9], 0, v28
	v_add_u32_e32 v28, 1, v18
	v_cndmask_b32_e64 v25, v18, v25, s[8:9]
	v_fma_f32 v18, -v28, v18, v2
	v_cmp_lt_f32_e64 s[8:9], 0, v18
	v_cndmask_b32_e64 v18, v25, v28, s[8:9]
	v_mul_f32_e32 v25, 0x37800000, v18
	v_cndmask_b32_e32 v18, v18, v25, vcc
	v_mov_b32_e32 v25, 0x260
	v_cmp_class_f32_e32 vcc, v2, v25
	v_cndmask_b32_e32 v2, v18, v2, vcc
	v_div_scale_f32 v18, s[8:9], v2, v2, s10
	v_rcp_f32_e32 v25, v18
	v_mov_b32_e32 v14, 0x359d422f
	v_fmac_f32_e32 v14, v17, v19
	v_mov_b32_e32 v19, 0x31a8fe3a
	v_fmac_f32_e32 v19, v17, v14
	v_fma_f32 v14, -v18, v25, 1.0
	v_fmac_f32_e32 v25, v14, v25
	v_div_scale_f32 v14, vcc, s10, v2, s10
	v_mul_f32_e32 v17, v14, v25
	v_fma_f32 v28, -v18, v17, v14
	v_fmac_f32_e32 v17, v28, v25
	v_fma_f32 v14, -v18, v17, v14
	v_div_fmas_f32 v14, v14, v25, v17
	v_mov_b32_e32 v22, 0x3c0881c4
	v_div_fixup_f32 v2, v14, v2, s10
	v_mul_f32_e32 v14, v16, v16
	v_mov_b32_e32 v23, 0xbab64f3b
	v_fmac_f32_e32 v22, 0xb94c1982, v14
	v_fmac_f32_e32 v24, v14, v22
	;; [unrolled: 1-line block ×3, first 2 shown]
	v_mul_f32_e32 v17, v14, v24
	v_fmac_f32_e32 v26, v14, v23
	v_fmac_f32_e32 v16, v16, v17
	;; [unrolled: 1-line block ×3, first 2 shown]
	v_and_b32_e32 v17, 1, v15
	v_mul_f32_e32 v11, v11, v12
	v_fma_f32 v14, v14, v27, 1.0
	v_cmp_eq_u32_e32 vcc, 0, v17
	v_div_scale_f32 v12, s[8:9], v19, v19, v11
	v_cndmask_b32_e64 v14, -v16, v14, vcc
	v_rcp_f32_e32 v16, v12
	v_lshlrev_b32_e32 v15, 30, v15
	v_and_b32_e32 v15, 0x80000000, v15
	v_xor_b32_e32 v14, v15, v14
	v_fma_f32 v15, -v12, v16, 1.0
	v_fmac_f32_e32 v16, v15, v16
	v_div_scale_f32 v15, vcc, v11, v19, v11
	v_mul_f32_e32 v17, v15, v16
	v_fma_f32 v18, -v12, v17, v15
	v_fmac_f32_e32 v17, v18, v16
	v_fma_f32 v12, -v12, v17, v15
	v_div_fmas_f32 v12, v12, v16, v17
	v_cndmask_b32_e64 v14, v21, v14, s[6:7]
	v_div_fixup_f32 v11, v12, v19, v11
	v_add_f32_e32 v8, 1.0, v8
	v_mul_f32_e32 v11, v11, v14
	v_fma_f32 v3, v8, v3, -v11
	v_mul_f32_e32 v8, v2, v3
.LBB12_77:
	s_or_b64 exec, exec, s[18:19]
.LBB12_78:
	s_or_b64 exec, exec, s[16:17]
.LBB12_79:
	s_or_b64 exec, exec, s[14:15]
.LBB12_80:
	s_or_b64 exec, exec, s[12:13]
	v_add_u32_e32 v2, 0x300, v5
	v_cmp_lt_i32_e32 vcc, v2, v4
	s_and_saveexec_b64 s[12:13], vcc
	s_cbranch_execz .LBB12_94
; %bb.81:
	s_mov_b32 s6, 0x7f800000
	s_waitcnt vmcnt(0) lgkmcnt(0)
	v_cmp_neq_f32_e64 s[6:7], |v13|, s6
	v_mov_b32_e32 v9, 0x7fc00000
	s_and_saveexec_b64 s[14:15], s[6:7]
	s_cbranch_execz .LBB12_108
; %bb.82:
	s_mov_b32 s6, 0x42cfc8b4
	v_cmp_nlt_f32_e32 vcc, s6, v13
	v_mov_b32_e32 v9, 0
	s_and_saveexec_b64 s[16:17], vcc
	s_cbranch_execz .LBB12_107
; %bb.83:
	s_mov_b32 s6, 0xc005c28f
	v_cmp_ngt_f32_e32 vcc, s6, v13
	s_and_saveexec_b64 s[6:7], vcc
	s_xor_b64 s[8:9], exec, s[6:7]
	s_cbranch_execz .LBB12_91
; %bb.84:
	s_mov_b32 s6, 0x4005c28f
	v_cmp_nle_f32_e64 s[10:11], s6, v13
	v_cmp_le_f32_e32 vcc, s6, v13
	v_mov_b32_e32 v9, 0
	s_mov_b64 s[6:7], s[10:11]
	s_and_saveexec_b64 s[18:19], vcc
	s_cbranch_execz .LBB12_86
; %bb.85:
	s_mov_b32 s20, 0xf800000
	v_mul_f32_e32 v2, 0x4f800000, v13
	v_cmp_gt_f32_e32 vcc, s20, v13
	v_cndmask_b32_e32 v2, v13, v2, vcc
	v_sqrt_f32_e32 v3, v2
	v_add_f32_e32 v9, v13, v13
	s_mov_b32 s21, 0x40400000
	v_add_u32_e32 v11, -1, v3
	v_fma_f32 v12, -v11, v3, v2
	v_cmp_ge_f32_e64 s[6:7], 0, v12
	v_add_u32_e32 v12, 1, v3
	v_cndmask_b32_e64 v11, v3, v11, s[6:7]
	v_fma_f32 v3, -v12, v3, v2
	v_cmp_lt_f32_e64 s[6:7], 0, v3
	v_cndmask_b32_e64 v3, v11, v12, s[6:7]
	v_mul_f32_e32 v11, 0x37800000, v3
	v_cndmask_b32_e32 v3, v3, v11, vcc
	v_mov_b32_e32 v11, 0x260
	v_cmp_class_f32_e32 vcc, v2, v11
	v_cndmask_b32_e32 v2, v3, v2, vcc
	v_mul_f32_e32 v3, v9, v2
	v_div_scale_f32 v9, s[6:7], s21, s21, v3
	v_rcp_f32_e32 v12, v9
	v_fma_f32 v14, -v9, v12, 1.0
	v_fmac_f32_e32 v12, v14, v12
	v_div_scale_f32 v14, vcc, v3, s21, v3
	v_mul_f32_e32 v15, v14, v12
	v_fma_f32 v16, -v9, v15, v14
	v_fmac_f32_e32 v15, v16, v12
	v_fma_f32 v9, -v9, v15, v14
	v_div_fmas_f32 v9, v9, v12, v15
	v_div_fixup_f32 v9, v9, s21, v3
	v_div_scale_f32 v3, s[6:7], v9, v9, 1.0
	v_rcp_f32_e32 v12, v3
	v_fma_f32 v14, -v3, v12, 1.0
	v_fmac_f32_e32 v12, v14, v12
	v_div_scale_f32 v14, vcc, 1.0, v9, 1.0
	v_mul_f32_e32 v15, v14, v12
	v_fma_f32 v16, -v3, v15, v14
	v_fmac_f32_e32 v15, v16, v12
	v_fma_f32 v3, -v3, v15, v14
	v_div_fmas_f32 v3, v3, v12, v15
	v_div_fixup_f32 v3, v3, v9, 1.0
	v_mov_b32_e32 v12, 0x3eb16d71
	v_fmac_f32_e32 v12, 0, v3
	v_mov_b32_e32 v14, 0x41401f1c
	v_fmac_f32_e32 v14, v3, v12
	;; [unrolled: 2-line block ×14, first 2 shown]
	v_fma_f32 v14, v3, v14, 1.0
	v_fma_f32 v3, v3, v12, 1.0
	v_div_scale_f32 v12, s[6:7], v14, v14, v3
	v_rcp_f32_e32 v15, v12
	v_cmp_gt_f32_e64 s[6:7], s20, v2
	v_fma_f32 v16, -v12, v15, 1.0
	v_fmac_f32_e32 v15, v16, v15
	v_div_scale_f32 v16, vcc, v3, v14, v3
	v_mul_f32_e32 v17, v16, v15
	v_fma_f32 v18, -v12, v17, v16
	v_fmac_f32_e32 v17, v18, v15
	v_fma_f32 v12, -v12, v17, v16
	v_mul_f32_e32 v16, 0x4f800000, v2
	v_cndmask_b32_e64 v16, v2, v16, s[6:7]
	v_sqrt_f32_e32 v18, v16
	v_div_fmas_f32 v2, v12, v15, v17
	v_div_fixup_f32 v2, v2, v14, v3
	v_add_u32_e32 v3, -1, v18
	v_fma_f32 v12, -v3, v18, v16
	v_cmp_ge_f32_e32 vcc, 0, v12
	v_add_u32_e32 v12, 1, v18
	v_fma_f32 v14, -v12, v18, v16
	v_cndmask_b32_e32 v3, v18, v3, vcc
	v_cmp_lt_f32_e32 vcc, 0, v14
	v_cndmask_b32_e32 v3, v3, v12, vcc
	v_mul_f32_e32 v12, 0x37800000, v3
	v_cndmask_b32_e64 v3, v3, v12, s[6:7]
	v_cmp_class_f32_e32 vcc, v16, v11
	s_mov_b32 s6, 0x3fb8aa3b
	v_mul_f32_e32 v11, 0x3fb8aa3b, v9
	v_fma_f32 v12, v9, s6, -v11
	v_rndne_f32_e32 v14, v11
	v_fmac_f32_e32 v12, 0x32a5705f, v9
	v_sub_f32_e32 v11, v11, v14
	v_add_f32_e32 v11, v11, v12
	v_exp_f32_e32 v11, v11
	v_cvt_i32_f32_e32 v12, v14
	s_mov_b32 s6, 0x3f106ebb
	v_cndmask_b32_e32 v3, v3, v16, vcc
	s_mov_b32 s7, 2.0
	v_pk_mul_f32 v[2:3], v[2:3], s[6:7]
	s_mov_b32 s6, 0xc2ce8ed0
	v_ldexp_f32 v11, v11, v12
	v_cmp_ngt_f32_e32 vcc, s6, v9
	s_mov_b32 s6, 0x42b17218
	v_cndmask_b32_e32 v11, 0, v11, vcc
	v_mov_b32_e32 v12, 0x7f800000
	v_cmp_nlt_f32_e32 vcc, s6, v9
	v_cndmask_b32_e32 v9, v12, v11, vcc
	v_mul_f32_e32 v3, v3, v9
	v_div_scale_f32 v9, s[6:7], v3, v3, v2
	v_rcp_f32_e32 v11, v9
	s_mov_b32 s6, 0x41052018
	v_fma_f32 v12, -v9, v11, 1.0
	v_fmac_f32_e32 v11, v12, v11
	v_div_scale_f32 v12, vcc, v2, v3, v2
	v_mul_f32_e32 v14, v12, v11
	v_fma_f32 v15, -v9, v14, v12
	v_fmac_f32_e32 v14, v15, v11
	v_fma_f32 v9, -v9, v14, v12
	v_div_fmas_f32 v9, v9, v11, v14
	v_cmp_nlt_f32_e32 vcc, s6, v13
	s_andn2_b64 s[6:7], s[10:11], exec
	s_and_b64 s[20:21], vcc, exec
	v_div_fixup_f32 v9, v9, v3, v2
	s_or_b64 s[6:7], s[6:7], s[20:21]
.LBB12_86:
	s_or_b64 exec, exec, s[18:19]
	s_and_saveexec_b64 s[18:19], s[6:7]
	s_cbranch_execz .LBB12_90
; %bb.87:
	v_mul_f32_e32 v2, v13, v13
	v_mul_f32_e32 v2, v13, v2
	v_mov_b32_e32 v11, 1.0
	v_mov_b32_e32 v3, v2
	s_mov_b64 s[20:21], 0
	s_brev_b32 s22, 44
	v_mov_b32_e32 v12, v11
	v_mov_b32_e32 v14, 1.0
	v_mov_b32_e32 v15, v13
.LBB12_88:                              ; =>This Inner Loop Header: Depth=1
	v_pk_mul_f32 v[14:15], v[2:3], v[14:15]
	v_add_f32_e32 v16, 1.0, v11
	v_add_f32_e32 v17, 1.0, v16
	v_div_scale_f32 v18, s[6:7], v16, v16, v14
	v_rcp_f32_e32 v21, v18
	v_div_scale_f32 v22, s[6:7], v17, v17, v15
	v_rcp_f32_e32 v24, v22
	v_fma_f32 v25, -v18, v21, 1.0
	v_div_scale_f32 v19, vcc, v14, v16, v14
	v_fmac_f32_e32 v21, v25, v21
	v_fma_f32 v25, -v22, v24, 1.0
	v_div_scale_f32 v23, s[6:7], v15, v17, v15
	v_mul_f32_e32 v26, v19, v21
	v_fmac_f32_e32 v24, v25, v24
	v_fma_f32 v25, -v18, v26, v19
	v_mul_f32_e32 v27, v23, v24
	v_fmac_f32_e32 v26, v25, v21
	v_fma_f32 v25, -v22, v27, v23
	v_fma_f32 v18, -v18, v26, v19
	v_fmac_f32_e32 v27, v25, v24
	v_div_fmas_f32 v18, v18, v21, v26
	v_fma_f32 v19, -v22, v27, v23
	s_mov_b64 vcc, s[6:7]
	v_div_fixup_f32 v14, v18, v16, v14
	v_div_fmas_f32 v16, v19, v24, v27
	v_add_f32_e32 v11, 1.0, v17
	v_div_fixup_f32 v15, v16, v17, v15
	v_div_scale_f32 v16, s[6:7], v17, v17, v14
	v_div_scale_f32 v19, s[26:27], v11, v11, v15
	v_rcp_f32_e32 v22, v16
	v_rcp_f32_e32 v23, v19
	v_div_scale_f32 v18, s[6:7], v14, v17, v14
	v_fma_f32 v24, -v16, v22, 1.0
	v_fma_f32 v25, -v19, v23, 1.0
	v_div_scale_f32 v21, vcc, v15, v11, v15
	v_fmac_f32_e32 v22, v24, v22
	v_fmac_f32_e32 v23, v25, v23
	v_mul_f32_e32 v24, v18, v22
	v_mul_f32_e32 v25, v21, v23
	v_fma_f32 v26, -v16, v24, v18
	v_fma_f32 v27, -v19, v25, v21
	v_fmac_f32_e32 v24, v26, v22
	v_fmac_f32_e32 v25, v27, v23
	v_fma_f32 v16, -v16, v24, v18
	v_fma_f32 v18, -v19, v25, v21
	v_div_fmas_f32 v18, v18, v23, v25
	s_mov_b64 vcc, s[6:7]
	v_div_fmas_f32 v16, v16, v22, v24
	v_div_fixup_f32 v15, v18, v11, v15
	v_div_fixup_f32 v14, v16, v17, v14
	v_pk_add_f32 v[12:13], v[12:13], v[14:15]
	v_div_scale_f32 v16, s[6:7], v12, v12, v14
	v_rcp_f32_e32 v17, v16
	v_div_scale_f32 v18, vcc, v14, v12, v14
	v_fma_f32 v19, -v16, v17, 1.0
	v_fmac_f32_e32 v17, v19, v17
	v_mul_f32_e32 v19, v18, v17
	v_fma_f32 v21, -v16, v19, v18
	v_fmac_f32_e32 v19, v21, v17
	v_fma_f32 v16, -v16, v19, v18
	v_div_fmas_f32 v16, v16, v17, v19
	v_div_fixup_f32 v16, v16, v12, v14
	v_cmp_ngt_f32_e64 s[6:7], |v16|, s22
	s_or_b64 s[20:21], s[6:7], s[20:21]
	s_andn2_b64 exec, exec, s[20:21]
	s_cbranch_execnz .LBB12_88
; %bb.89:
	s_or_b64 exec, exec, s[20:21]
	s_mov_b32 s6, 0x3eb5c63d
	s_mov_b32 s7, 0x3e8483fa
	v_pk_mul_f32 v[2:3], v[12:13], s[6:7]
	v_sub_f32_e32 v2, v2, v3
	v_cndmask_b32_e64 v9, v9, v2, s[10:11]
.LBB12_90:
	s_or_b64 exec, exec, s[18:19]
                                        ; implicit-def: $vgpr13
.LBB12_91:
	s_andn2_saveexec_b64 s[18:19], s[8:9]
	s_cbranch_execz .LBB12_106
; %bb.92:
	s_mov_b32 s6, 0x8f800000
	v_mul_f32_e32 v2, 0xcf800000, v13
	v_cmp_lt_f32_e32 vcc, s6, v13
	v_cndmask_b32_e64 v2, -v13, v2, vcc
	v_sqrt_f32_e32 v3, v2
	v_mul_f32_e32 v9, -2.0, v13
	s_mov_b32 s8, 0x40400000
	v_add_u32_e32 v11, -1, v3
	v_fma_f32 v12, -v11, v3, v2
	v_cmp_ge_f32_e64 s[6:7], 0, v12
	v_add_u32_e32 v12, 1, v3
	v_cndmask_b32_e64 v11, v3, v11, s[6:7]
	v_fma_f32 v3, -v12, v3, v2
	v_cmp_lt_f32_e64 s[6:7], 0, v3
	v_cndmask_b32_e64 v3, v11, v12, s[6:7]
	v_mul_f32_e32 v11, 0x37800000, v3
	v_cndmask_b32_e32 v3, v3, v11, vcc
	v_mov_b32_e32 v11, 0x260
	v_cmp_class_f32_e32 vcc, v2, v11
	v_cndmask_b32_e32 v2, v3, v2, vcc
	v_mul_f32_e32 v3, v9, v2
	v_div_scale_f32 v9, s[6:7], s8, s8, v3
	v_rcp_f32_e32 v11, v9
	s_brev_b32 s6, 18
	v_fma_f32 v12, -v9, v11, 1.0
	v_fmac_f32_e32 v11, v12, v11
	v_div_scale_f32 v12, vcc, v3, s8, v3
	v_mul_f32_e32 v13, v12, v11
	v_fma_f32 v14, -v9, v13, v12
	v_fmac_f32_e32 v13, v14, v11
	v_fma_f32 v9, -v9, v13, v12
	v_div_fmas_f32 v9, v9, v11, v13
	v_div_fixup_f32 v11, v9, s8, v3
	v_add_f32_e32 v3, 0x3f490fdb, v11
	v_and_b32_e32 v9, 0x7fffffff, v3
	v_cmp_nlt_f32_e64 s[20:21], |v3|, s6
	v_lshrrev_b32_e32 v16, 23, v9
                                        ; implicit-def: $vgpr12
                                        ; implicit-def: $vgpr13
	s_and_saveexec_b64 s[6:7], s[20:21]
	s_xor_b64 s[22:23], exec, s[6:7]
	s_cbranch_execz .LBB12_99
; %bb.93:
	v_add_u32_e32 v12, 0xffffff88, v16
	v_not_b32_e32 v14, 63
	v_cmp_lt_u32_e32 vcc, 63, v12
	v_cndmask_b32_e32 v14, 0, v14, vcc
	v_add_u32_e32 v12, v14, v12
	v_not_b32_e32 v14, 31
	v_cmp_lt_u32_e64 s[6:7], 31, v12
	v_cndmask_b32_e64 v15, 0, v14, s[6:7]
	v_add_u32_e32 v12, v15, v12
	v_cmp_lt_u32_e64 s[8:9], 31, v12
	v_cndmask_b32_e64 v14, 0, v14, s[8:9]
	v_add_u32_e32 v17, v14, v12
	v_and_b32_e32 v12, 0x7fffff, v9
	v_or_b32_e32 v21, 0x800000, v12
	s_mov_b32 s10, 0xfe5163ab
	v_mad_u64_u32 v[14:15], s[10:11], v21, s10, 0
	v_mov_b32_e32 v13, 0
	v_mov_b32_e32 v12, v15
	s_mov_b32 s10, 0x3c439041
	v_mad_u64_u32 v[18:19], s[10:11], v21, s10, v[12:13]
	v_mov_b32_e32 v12, v19
	s_mov_b32 s10, 0xdb629599
	v_mad_u64_u32 v[22:23], s[10:11], v21, s10, v[12:13]
	;; [unrolled: 3-line block ×6, first 2 shown]
	v_cndmask_b32_e32 v15, v28, v24, vcc
	v_cndmask_b32_e32 v12, v12, v26, vcc
	;; [unrolled: 1-line block ×3, first 2 shown]
	v_cndmask_b32_e64 v19, v12, v15, s[6:7]
	v_cndmask_b32_e64 v12, v13, v12, s[6:7]
	v_cndmask_b32_e32 v13, v26, v22, vcc
	v_cndmask_b32_e64 v15, v15, v13, s[6:7]
	v_sub_u32_e32 v21, 32, v17
	v_cmp_eq_u32_e64 s[10:11], 0, v17
	v_cndmask_b32_e32 v17, v24, v18, vcc
	v_cndmask_b32_e64 v12, v12, v19, s[8:9]
	v_cndmask_b32_e64 v19, v19, v15, s[8:9]
	;; [unrolled: 1-line block ×3, first 2 shown]
	v_alignbit_b32 v23, v12, v19, v21
	v_cndmask_b32_e64 v15, v15, v13, s[8:9]
	v_cndmask_b32_e64 v12, v23, v12, s[10:11]
	v_alignbit_b32 v18, v19, v15, v21
	v_cndmask_b32_e64 v18, v18, v19, s[10:11]
	v_bfe_u32 v24, v12, 29, 1
	v_cndmask_b32_e32 v14, v22, v14, vcc
	v_alignbit_b32 v19, v12, v18, 30
	v_sub_u32_e32 v25, 0, v24
	v_cndmask_b32_e64 v14, v17, v14, s[6:7]
	v_xor_b32_e32 v26, v19, v25
	v_cndmask_b32_e64 v13, v13, v14, s[8:9]
	v_alignbit_b32 v14, v15, v13, v21
	v_ffbh_u32_e32 v17, v26
	v_cndmask_b32_e64 v14, v14, v15, s[10:11]
	v_add_u32_e32 v17, 1, v17
	v_cmp_ne_u32_e32 vcc, v19, v25
	v_alignbit_b32 v15, v18, v14, 30
	v_cndmask_b32_e32 v17, 33, v17, vcc
	v_alignbit_b32 v13, v14, v13, 30
	v_xor_b32_e32 v15, v15, v25
	v_sub_u32_e32 v18, 32, v17
	v_xor_b32_e32 v13, v13, v25
	v_alignbit_b32 v19, v26, v15, v18
	v_alignbit_b32 v13, v15, v13, v18
	;; [unrolled: 1-line block ×3, first 2 shown]
	v_ffbh_u32_e32 v15, v14
	v_min_u32_e32 v15, 32, v15
	v_lshrrev_b32_e32 v23, 29, v12
	v_sub_u32_e32 v18, 31, v15
	v_alignbit_b32 v13, v14, v13, v18
	v_lshlrev_b32_e32 v14, 31, v23
	v_or_b32_e32 v18, 0x33800000, v14
	v_add_lshl_u32 v15, v15, v17, 23
	v_lshrrev_b32_e32 v13, 9, v13
	v_sub_u32_e32 v15, v18, v15
	v_or_b32_e32 v13, v15, v13
	v_alignbit_b32 v15, v17, v19, 9
	v_or_b32_e32 v14, v15, v14
	v_xor_b32_e32 v14, 1.0, v14
	s_mov_b32 s6, 0x3fc90fda
	v_mul_f32_e32 v15, 0x3fc90fda, v14
	v_fma_f32 v17, v14, s6, -v15
	v_fmac_f32_e32 v17, 0x33a22168, v14
	v_fmac_f32_e32 v17, 0x3fc90fda, v13
	v_lshrrev_b32_e32 v12, 30, v12
	v_add_f32_e32 v13, v15, v17
	v_add_u32_e32 v12, v24, v12
	s_andn2_saveexec_b64 s[6:7], s[22:23]
	s_branch .LBB12_100
.LBB12_94:
	s_or_b64 exec, exec, s[12:13]
	s_and_saveexec_b64 s[6:7], s[4:5]
	s_xor_b64 s[4:5], exec, s[6:7]
	s_cbranch_execz .LBB12_109
.LBB12_95:
	v_mov_b32_e32 v11, 0
	v_lshlrev_b64 v[2:3], 2, v[10:11]
	v_add_co_u32_e32 v2, vcc, v0, v2
	v_addc_co_u32_e32 v3, vcc, v1, v3, vcc
	v_mov_b32_e32 v5, v20
	flat_store_dword v[2:3], v6
	s_or_b64 exec, exec, s[4:5]
	v_cmp_lt_i32_e32 vcc, v5, v4
	s_and_saveexec_b64 s[4:5], vcc
	s_cbranch_execnz .LBB12_110
.LBB12_96:
	s_or_b64 exec, exec, s[4:5]
	v_cmp_lt_i32_e32 vcc, v5, v4
	s_and_saveexec_b64 s[4:5], vcc
	s_cbranch_execz .LBB12_111
.LBB12_97:
	v_add_u32_e32 v2, s24, v5
	v_mov_b32_e32 v3, 0
	v_lshlrev_b64 v[2:3], 2, v[2:3]
	v_add_co_u32_e32 v2, vcc, v0, v2
	v_addc_co_u32_e32 v3, vcc, v1, v3, vcc
	v_add_u32_e32 v5, 0x100, v5
	flat_store_dword v[2:3], v8
	s_or_b64 exec, exec, s[4:5]
	v_cmp_lt_i32_e32 vcc, v5, v4
	s_and_saveexec_b64 s[4:5], vcc
	s_cbranch_execnz .LBB12_112
.LBB12_98:
	s_or_b64 exec, exec, s[4:5]
	s_waitcnt vmcnt(0) lgkmcnt(0)
	s_setpc_b64 s[30:31]
.LBB12_99:
	s_andn2_saveexec_b64 s[6:7], s[22:23]
.LBB12_100:
	s_mov_b32 s8, 0x3f22f983
	v_mul_f32_e64 v12, |v3|, s8
	v_rndne_f32_e32 v14, v12
	s_mov_b32 s8, 0xbfc90fda
	v_cvt_i32_f32_e32 v12, v14
	v_fma_f32 v13, v14, s8, |v3|
	v_fmac_f32_e32 v13, 0xb3a22168, v14
	v_fmac_f32_e32 v13, 0xa7c234c4, v14
; %bb.101:
	s_or_b64 exec, exec, s[6:7]
                                        ; implicit-def: $vgpr14
                                        ; implicit-def: $vgpr15
	s_and_saveexec_b64 s[6:7], s[20:21]
	s_xor_b64 s[20:21], exec, s[6:7]
	s_cbranch_execz .LBB12_103
; %bb.102:
	v_add_u32_e32 v14, 0xffffff88, v16
	v_not_b32_e32 v16, 63
	v_cmp_lt_u32_e32 vcc, 63, v14
	v_cndmask_b32_e32 v16, 0, v16, vcc
	v_add_u32_e32 v14, v16, v14
	v_not_b32_e32 v16, 31
	v_cmp_lt_u32_e64 s[6:7], 31, v14
	v_cndmask_b32_e64 v17, 0, v16, s[6:7]
	v_add_u32_e32 v14, v17, v14
	v_cmp_lt_u32_e64 s[8:9], 31, v14
	v_cndmask_b32_e64 v16, 0, v16, s[8:9]
	v_add_u32_e32 v21, v16, v14
	v_and_b32_e32 v14, 0x7fffff, v9
	v_or_b32_e32 v30, 0x800000, v14
	s_mov_b32 s10, 0xfe5163ab
	v_mad_u64_u32 v[16:17], s[10:11], v30, s10, 0
	v_mov_b32_e32 v15, 0
	v_mov_b32_e32 v14, v17
	s_mov_b32 s10, 0x3c439041
	v_mad_u64_u32 v[18:19], s[10:11], v30, s10, v[14:15]
	v_mov_b32_e32 v14, v19
	s_mov_b32 s10, 0xdb629599
	v_mad_u64_u32 v[22:23], s[10:11], v30, s10, v[14:15]
	;; [unrolled: 3-line block ×6, first 2 shown]
	v_cndmask_b32_e32 v17, v28, v24, vcc
	v_cndmask_b32_e32 v14, v14, v26, vcc
	;; [unrolled: 1-line block ×3, first 2 shown]
	v_cndmask_b32_e64 v19, v14, v17, s[6:7]
	v_cndmask_b32_e64 v14, v15, v14, s[6:7]
	v_cndmask_b32_e32 v15, v26, v22, vcc
	v_cndmask_b32_e64 v17, v17, v15, s[6:7]
	v_cndmask_b32_e32 v18, v24, v18, vcc
	v_cndmask_b32_e64 v14, v14, v19, s[8:9]
	v_cndmask_b32_e64 v19, v19, v17, s[8:9]
	v_sub_u32_e32 v23, 32, v21
	v_cndmask_b32_e64 v15, v15, v18, s[6:7]
	v_alignbit_b32 v25, v14, v19, v23
	v_cmp_eq_u32_e64 s[10:11], 0, v21
	v_cndmask_b32_e64 v17, v17, v15, s[8:9]
	v_cndmask_b32_e64 v14, v25, v14, s[10:11]
	v_alignbit_b32 v21, v19, v17, v23
	v_cndmask_b32_e64 v19, v21, v19, s[10:11]
	v_bfe_u32 v25, v14, 29, 1
	v_cndmask_b32_e32 v16, v22, v16, vcc
	v_alignbit_b32 v21, v14, v19, 30
	v_sub_u32_e32 v26, 0, v25
	v_cndmask_b32_e64 v16, v18, v16, s[6:7]
	v_xor_b32_e32 v27, v21, v26
	v_cndmask_b32_e64 v15, v15, v16, s[8:9]
	v_alignbit_b32 v16, v17, v15, v23
	v_ffbh_u32_e32 v18, v27
	v_cndmask_b32_e64 v16, v16, v17, s[10:11]
	v_add_u32_e32 v18, 1, v18
	v_cmp_ne_u32_e32 vcc, v21, v26
	v_alignbit_b32 v17, v19, v16, 30
	v_cndmask_b32_e32 v18, 33, v18, vcc
	v_alignbit_b32 v15, v16, v15, 30
	v_xor_b32_e32 v17, v17, v26
	v_sub_u32_e32 v19, 32, v18
	v_xor_b32_e32 v15, v15, v26
	v_alignbit_b32 v21, v27, v17, v19
	v_alignbit_b32 v15, v17, v15, v19
	v_alignbit_b32 v16, v21, v15, 9
	v_ffbh_u32_e32 v17, v16
	v_min_u32_e32 v17, 32, v17
	v_lshrrev_b32_e32 v24, 29, v14
	v_sub_u32_e32 v19, 31, v17
	v_alignbit_b32 v15, v16, v15, v19
	v_lshlrev_b32_e32 v16, 31, v24
	v_or_b32_e32 v19, 0x33800000, v16
	v_add_lshl_u32 v17, v17, v18, 23
	v_lshrrev_b32_e32 v15, 9, v15
	v_sub_u32_e32 v17, v19, v17
	v_or_b32_e32 v15, v17, v15
	v_alignbit_b32 v17, v18, v21, 9
	v_or_b32_e32 v16, v17, v16
	v_xor_b32_e32 v16, 1.0, v16
	s_mov_b32 s6, 0x3fc90fda
	v_mul_f32_e32 v17, 0x3fc90fda, v16
	v_fma_f32 v18, v16, s6, -v17
	v_fmac_f32_e32 v18, 0x33a22168, v16
	v_fmac_f32_e32 v18, 0x3fc90fda, v15
	v_lshrrev_b32_e32 v14, 30, v14
	v_add_f32_e32 v15, v17, v18
	v_add_u32_e32 v14, v25, v14
	s_andn2_saveexec_b64 s[6:7], s[20:21]
	s_cbranch_execnz .LBB12_104
	s_branch .LBB12_105
.LBB12_103:
	s_andn2_saveexec_b64 s[6:7], s[20:21]
.LBB12_104:
	s_mov_b32 s8, 0x3f22f983
	v_mul_f32_e64 v14, |v3|, s8
	v_rndne_f32_e32 v16, v14
	s_mov_b32 s8, 0xbfc90fda
	v_cvt_i32_f32_e32 v14, v16
	v_fma_f32 v15, v16, s8, |v3|
	v_fmac_f32_e32 v15, 0xb3a22168, v16
	v_fmac_f32_e32 v15, 0xa7c234c4, v16
.LBB12_105:
	s_or_b64 exec, exec, s[6:7]
	v_div_scale_f32 v16, s[6:7], v11, v11, 1.0
	v_rcp_f32_e32 v17, v16
	v_div_scale_f32 v18, vcc, 1.0, v11, 1.0
	v_mov_b32_e32 v24, 0xbab64f3b
	v_fma_f32 v19, -v16, v17, 1.0
	v_fmac_f32_e32 v17, v19, v17
	v_mul_f32_e32 v19, v18, v17
	v_fma_f32 v21, -v16, v19, v18
	v_fmac_f32_e32 v19, v21, v17
	v_fma_f32 v16, -v16, v19, v18
	v_div_fmas_f32 v16, v16, v17, v19
	v_div_fixup_f32 v11, v16, v11, 1.0
	v_mul_f32_e32 v16, v11, v11
	v_mov_b32_e32 v17, 0xbe06db67
	v_fmac_f32_e32 v17, 0, v16
	v_mov_b32_e32 v18, 0xbf205f75
	v_fmac_f32_e32 v18, v16, v17
	;; [unrolled: 2-line block ×18, first 2 shown]
	v_mul_f32_e32 v18, v13, v13
	v_mov_b32_e32 v22, 0x3c0881c4
	v_fmac_f32_e32 v24, 0x37d75334, v18
	v_mov_b32_e32 v25, 0x3d2aabf7
	v_fmac_f32_e32 v22, 0xb94c1982, v18
	v_mov_b32_e32 v23, 0xbe2aaa9d
	v_fma_f32 v24, v18, v24, v25
	v_mov_b32_e32 v26, 0xbf000004
	v_fma_f32 v22, v18, v22, v23
	v_fma_f32 v24, v18, v24, v26
	v_mul_f32_e32 v22, v18, v22
	v_fma_f32 v18, v18, v24, 1.0
	v_and_b32_e32 v24, 1, v12
	v_lshlrev_b32_e32 v12, 30, v12
	v_fmac_f32_e32 v13, v13, v22
	v_cmp_eq_u32_e32 vcc, 0, v24
	v_and_b32_e32 v12, 0x80000000, v12
	v_xor_b32_e32 v9, v9, v3
	v_cndmask_b32_e32 v13, v18, v13, vcc
	v_xor_b32_e32 v9, v9, v12
	v_mul_f32_e32 v12, v16, v19
	v_xor_b32_e32 v9, v9, v13
	v_div_scale_f32 v13, s[6:7], v17, v17, v12
	v_rcp_f32_e32 v18, v13
	s_movk_i32 s8, 0x1f8
	v_mov_b32_e32 v19, 0x7fc00000
	v_cmp_class_f32_e64 s[6:7], v3, s8
	v_cndmask_b32_e64 v3, v19, v9, s[6:7]
	v_fma_f32 v9, -v13, v18, 1.0
	v_fmac_f32_e32 v18, v9, v18
	v_div_scale_f32 v9, vcc, v12, v17, v12
	v_mul_f32_e32 v24, v9, v18
	v_fma_f32 v27, -v13, v24, v9
	v_fmac_f32_e32 v24, v27, v18
	v_fma_f32 v9, -v13, v24, v9
	v_div_fmas_f32 v9, v9, v18, v24
	v_div_fixup_f32 v9, v9, v17, v12
	v_mov_b32_e32 v12, 0x3ca1a92f
	v_fmac_f32_e32 v12, 0, v16
	v_mov_b32_e32 v13, 0x3ec83ea8
	v_fmac_f32_e32 v13, v16, v12
	v_mov_b32_e32 v12, 0x3f886c1a
	v_fmac_f32_e32 v12, v16, v13
	v_mov_b32_e32 v13, 0x3f706d65
	v_fmac_f32_e32 v13, v16, v12
	v_mov_b32_e32 v12, 0x3eb3f34e
	v_fmac_f32_e32 v12, v16, v13
	v_mov_b32_e32 v13, 0x3d81d209
	v_fmac_f32_e32 v13, v16, v12
	v_mov_b32_e32 v12, 0x3bbff4d0
	v_fmac_f32_e32 v12, v16, v13
	v_mov_b32_e32 v13, 0x39944bb3
	v_fmac_f32_e32 v13, v16, v12
	v_mov_b32_e32 v12, 0x36ea79eb
	v_fmac_f32_e32 v12, v16, v13
	v_mov_b32_e32 v13, 0x33ae5496
	v_fmac_f32_e32 v13, v16, v12
	v_mov_b32_e32 v12, 0x2fbbc524
	v_fmac_f32_e32 v12, v16, v13
	v_mov_b32_e32 v13, 0x4114f160
	v_fmac_f32_e32 v13, 0, v16
	v_mov_b32_e32 v17, 0x419eaeae
	v_fmac_f32_e32 v17, v16, v13
	v_mov_b32_e32 v13, 0x417908dc
	v_fmac_f32_e32 v13, v16, v17
	v_mov_b32_e32 v17, 0x40af4271
	v_fmac_f32_e32 v17, v16, v13
	v_mov_b32_e32 v13, 0x3f744c96
	v_fmac_f32_e32 v13, v16, v17
	v_mov_b32_e32 v17, 0x3db110ef
	v_fmac_f32_e32 v17, v16, v13
	v_mov_b32_e32 v13, 0x3b873823
	s_mov_b32 s8, 0xf800000
	v_fmac_f32_e32 v13, v16, v17
	v_mul_f32_e32 v17, 0x4f800000, v2
	v_cmp_gt_f32_e32 vcc, s8, v2
	v_cndmask_b32_e32 v2, v2, v17, vcc
	v_sqrt_f32_e32 v17, v2
	s_mov_b32 s10, 0x3f106ebb
	v_mov_b32_e32 v18, 0x38d45b0f
	v_fmac_f32_e32 v18, v16, v13
	v_add_u32_e32 v24, -1, v17
	v_fma_f32 v27, -v24, v17, v2
	v_cmp_ge_f32_e64 s[8:9], 0, v27
	v_add_u32_e32 v27, 1, v17
	v_cndmask_b32_e64 v24, v17, v24, s[8:9]
	v_fma_f32 v17, -v27, v17, v2
	v_cmp_lt_f32_e64 s[8:9], 0, v17
	v_cndmask_b32_e64 v17, v24, v27, s[8:9]
	v_mul_f32_e32 v24, 0x37800000, v17
	v_cndmask_b32_e32 v17, v17, v24, vcc
	v_mov_b32_e32 v24, 0x260
	v_cmp_class_f32_e32 vcc, v2, v24
	v_cndmask_b32_e32 v2, v17, v2, vcc
	v_div_scale_f32 v17, s[8:9], v2, v2, s10
	v_rcp_f32_e32 v24, v17
	v_mov_b32_e32 v13, 0x359d422f
	v_fmac_f32_e32 v13, v16, v18
	v_mov_b32_e32 v18, 0x31a8fe3a
	v_fmac_f32_e32 v18, v16, v13
	v_fma_f32 v13, -v17, v24, 1.0
	v_fmac_f32_e32 v24, v13, v24
	v_div_scale_f32 v13, vcc, s10, v2, s10
	v_mul_f32_e32 v16, v13, v24
	v_fma_f32 v27, -v17, v16, v13
	v_fmac_f32_e32 v16, v27, v24
	v_fma_f32 v13, -v17, v16, v13
	v_div_fmas_f32 v13, v13, v24, v16
	v_mov_b32_e32 v21, 0x3c0881c4
	v_div_fixup_f32 v2, v13, v2, s10
	v_mul_f32_e32 v13, v15, v15
	v_mov_b32_e32 v22, 0xbab64f3b
	v_fmac_f32_e32 v21, 0xb94c1982, v13
	v_fmac_f32_e32 v23, v13, v21
	;; [unrolled: 1-line block ×3, first 2 shown]
	v_mul_f32_e32 v16, v13, v23
	v_fmac_f32_e32 v25, v13, v22
	v_fmac_f32_e32 v15, v15, v16
	;; [unrolled: 1-line block ×3, first 2 shown]
	v_and_b32_e32 v16, 1, v14
	v_mul_f32_e32 v11, v11, v12
	v_fma_f32 v13, v13, v26, 1.0
	v_cmp_eq_u32_e32 vcc, 0, v16
	v_div_scale_f32 v12, s[8:9], v18, v18, v11
	v_cndmask_b32_e64 v13, -v15, v13, vcc
	v_rcp_f32_e32 v15, v12
	v_lshlrev_b32_e32 v14, 30, v14
	v_and_b32_e32 v14, 0x80000000, v14
	v_xor_b32_e32 v13, v14, v13
	v_fma_f32 v14, -v12, v15, 1.0
	v_fmac_f32_e32 v15, v14, v15
	v_div_scale_f32 v14, vcc, v11, v18, v11
	v_mul_f32_e32 v16, v14, v15
	v_fma_f32 v17, -v12, v16, v14
	v_fmac_f32_e32 v16, v17, v15
	v_fma_f32 v12, -v12, v16, v14
	v_div_fmas_f32 v12, v12, v15, v16
	v_cndmask_b32_e64 v13, v19, v13, s[6:7]
	v_div_fixup_f32 v11, v12, v18, v11
	v_add_f32_e32 v9, 1.0, v9
	v_mul_f32_e32 v11, v11, v13
	v_fma_f32 v3, v9, v3, -v11
	v_mul_f32_e32 v9, v2, v3
.LBB12_106:
	s_or_b64 exec, exec, s[18:19]
.LBB12_107:
	s_or_b64 exec, exec, s[16:17]
.LBB12_108:
	s_or_b64 exec, exec, s[14:15]
	s_or_b64 exec, exec, s[12:13]
	s_and_saveexec_b64 s[6:7], s[4:5]
	s_xor_b64 s[4:5], exec, s[6:7]
	s_cbranch_execnz .LBB12_95
.LBB12_109:
	s_or_b64 exec, exec, s[4:5]
	v_cmp_lt_i32_e32 vcc, v5, v4
	s_and_saveexec_b64 s[4:5], vcc
	s_cbranch_execz .LBB12_96
.LBB12_110:
	v_add_u32_e32 v2, s24, v5
	v_mov_b32_e32 v3, 0
	v_lshlrev_b64 v[2:3], 2, v[2:3]
	v_add_co_u32_e32 v2, vcc, v0, v2
	v_addc_co_u32_e32 v3, vcc, v1, v3, vcc
	v_add_u32_e32 v5, 0x100, v5
	flat_store_dword v[2:3], v7
	s_or_b64 exec, exec, s[4:5]
	v_cmp_lt_i32_e32 vcc, v5, v4
	s_and_saveexec_b64 s[4:5], vcc
	s_cbranch_execnz .LBB12_97
.LBB12_111:
	s_or_b64 exec, exec, s[4:5]
	v_cmp_lt_i32_e32 vcc, v5, v4
	s_and_saveexec_b64 s[4:5], vcc
	s_cbranch_execz .LBB12_98
.LBB12_112:
	v_add_u32_e32 v2, s24, v5
	v_mov_b32_e32 v3, 0
	v_lshlrev_b64 v[2:3], 2, v[2:3]
	v_add_co_u32_e32 v0, vcc, v0, v2
	v_addc_co_u32_e32 v1, vcc, v1, v3, vcc
	flat_store_dword v[0:1], v9
	s_or_b64 exec, exec, s[4:5]
	s_waitcnt vmcnt(0) lgkmcnt(0)
	s_setpc_b64 s[30:31]
.Lfunc_end12:
	.size	_ZN2at6native25elementwise_kernel_helperILb0EZZZNS0_12_GLOBAL__N_119airy_ai_kernel_cudaERNS_18TensorIteratorBaseEENKUlvE_clEvENKUlvE0_clEvEUlfE_NS0_6memory8policies11unroll_baseILi256ESt5arrayIPcLm2EE23TrivialOffsetCalculatorILi1EjESF_NS8_15LoadWithoutCastENS8_16StoreWithoutCastELi4ELi1EEEEEvT0_T1_, .Lfunc_end12-_ZN2at6native25elementwise_kernel_helperILb0EZZZNS0_12_GLOBAL__N_119airy_ai_kernel_cudaERNS_18TensorIteratorBaseEENKUlvE_clEvENKUlvE0_clEvEUlfE_NS0_6memory8policies11unroll_baseILi256ESt5arrayIPcLm2EE23TrivialOffsetCalculatorILi1EjESF_NS8_15LoadWithoutCastENS8_16StoreWithoutCastELi4ELi1EEEEEvT0_T1_
                                        ; -- End function
	.section	.AMDGPU.csdata,"",@progbits
; Function info:
; codeLenInByte = 17720
; NumSgprs: 36
; NumVgprs: 34
; NumAgprs: 0
; TotalNumVgprs: 34
; ScratchSize: 0
; MemoryBound: 0
	.text
	.p2align	2                               ; -- Begin function _ZN2at6native25elementwise_kernel_helperILb0EZZZNS0_12_GLOBAL__N_119airy_ai_kernel_cudaERNS_18TensorIteratorBaseEENKUlvE_clEvENKUlvE0_clEvEUlfE_NS0_6memory8policies10vectorizedILi4ESt5arrayIPcLm2EELi4EEEEEvT0_T1_
	.type	_ZN2at6native25elementwise_kernel_helperILb0EZZZNS0_12_GLOBAL__N_119airy_ai_kernel_cudaERNS_18TensorIteratorBaseEENKUlvE_clEvENKUlvE0_clEvEUlfE_NS0_6memory8policies10vectorizedILi4ESt5arrayIPcLm2EELi4EEEEEvT0_T1_,@function
_ZN2at6native25elementwise_kernel_helperILb0EZZZNS0_12_GLOBAL__N_119airy_ai_kernel_cudaERNS_18TensorIteratorBaseEENKUlvE_clEvENKUlvE0_clEvEUlfE_NS0_6memory8policies10vectorizedILi4ESt5arrayIPcLm2EELi4EEEEEvT0_T1_: ; @_ZN2at6native25elementwise_kernel_helperILb0EZZZNS0_12_GLOBAL__N_119airy_ai_kernel_cudaERNS_18TensorIteratorBaseEENKUlvE_clEvENKUlvE0_clEvEUlfE_NS0_6memory8policies10vectorizedILi4ESt5arrayIPcLm2EELi4EEEEEvT0_T1_
; %bb.0:
	s_waitcnt vmcnt(0) expcnt(0) lgkmcnt(0)
	s_lshl_b32 s4, s12, 10
	s_ashr_i32 s5, s4, 31
	s_lshl_b64 s[10:11], s[4:5], 2
	v_mov_b32_e32 v4, s11
	v_add_co_u32_e32 v2, vcc, s10, v2
	v_addc_co_u32_e32 v3, vcc, v3, v4, vcc
	v_and_b32_e32 v4, 0x3ff, v31
	v_lshlrev_b32_e32 v14, 4, v4
	v_add_co_u32_e32 v2, vcc, v2, v14
	v_addc_co_u32_e32 v3, vcc, 0, v3, vcc
	flat_load_dwordx4 v[6:9], v[2:3]
	s_mov_b32 s22, 0x7f800000
	v_mov_b32_e32 v3, 0x7fc00000
	v_mov_b32_e32 v2, 0x7fc00000
	s_waitcnt vmcnt(0) lgkmcnt(0)
	v_cmp_neq_f32_e64 s[4:5], |v6|, s22
	s_and_saveexec_b64 s[12:13], s[4:5]
	s_cbranch_execz .LBB13_22
; %bb.1:
	s_mov_b32 s4, 0x42cfc8b4
	v_cmp_nlt_f32_e32 vcc, s4, v6
	v_mov_b32_e32 v2, 0
	s_and_saveexec_b64 s[14:15], vcc
	s_cbranch_execz .LBB13_21
; %bb.2:
	s_mov_b32 s4, 0xc005c28f
	v_cmp_ngt_f32_e32 vcc, s4, v6
	s_and_saveexec_b64 s[4:5], vcc
	s_xor_b64 s[6:7], exec, s[4:5]
	s_cbranch_execz .LBB13_10
; %bb.3:
	s_mov_b32 s4, 0x4005c28f
	v_cmp_nle_f32_e64 s[8:9], s4, v6
	v_cmp_le_f32_e32 vcc, s4, v6
	v_mov_b32_e32 v2, 0
	s_mov_b64 s[4:5], s[8:9]
	s_and_saveexec_b64 s[16:17], vcc
	s_cbranch_execz .LBB13_5
; %bb.4:
	s_mov_b32 s18, 0xf800000
	v_mul_f32_e32 v2, 0x4f800000, v6
	v_cmp_gt_f32_e32 vcc, s18, v6
	v_cndmask_b32_e32 v2, v6, v2, vcc
	v_sqrt_f32_e32 v4, v2
	v_add_f32_e32 v5, v6, v6
	s_mov_b32 s19, 0x40400000
	v_add_u32_e32 v10, -1, v4
	v_fma_f32 v11, -v10, v4, v2
	v_cmp_ge_f32_e64 s[4:5], 0, v11
	v_add_u32_e32 v11, 1, v4
	v_cndmask_b32_e64 v10, v4, v10, s[4:5]
	v_fma_f32 v4, -v11, v4, v2
	v_cmp_lt_f32_e64 s[4:5], 0, v4
	v_cndmask_b32_e64 v4, v10, v11, s[4:5]
	v_mul_f32_e32 v10, 0x37800000, v4
	v_cndmask_b32_e32 v4, v4, v10, vcc
	v_mov_b32_e32 v10, 0x260
	v_cmp_class_f32_e32 vcc, v2, v10
	v_cndmask_b32_e32 v2, v4, v2, vcc
	v_mul_f32_e32 v4, v5, v2
	v_div_scale_f32 v5, s[4:5], s19, s19, v4
	v_rcp_f32_e32 v11, v5
	v_fma_f32 v12, -v5, v11, 1.0
	v_fmac_f32_e32 v11, v12, v11
	v_div_scale_f32 v12, vcc, v4, s19, v4
	v_mul_f32_e32 v13, v12, v11
	v_fma_f32 v15, -v5, v13, v12
	v_fmac_f32_e32 v13, v15, v11
	v_fma_f32 v5, -v5, v13, v12
	v_div_fmas_f32 v5, v5, v11, v13
	v_div_fixup_f32 v11, v5, s19, v4
	v_div_scale_f32 v4, s[4:5], v11, v11, 1.0
	v_rcp_f32_e32 v5, v4
	v_fma_f32 v12, -v4, v5, 1.0
	v_fmac_f32_e32 v5, v12, v5
	v_div_scale_f32 v12, vcc, 1.0, v11, 1.0
	v_mul_f32_e32 v13, v12, v5
	v_fma_f32 v15, -v4, v13, v12
	v_fmac_f32_e32 v13, v15, v5
	v_fma_f32 v4, -v4, v13, v12
	v_div_fmas_f32 v4, v4, v5, v13
	v_div_fixup_f32 v4, v4, v11, 1.0
	v_mov_b32_e32 v5, 0x3eb16d71
	v_fmac_f32_e32 v5, 0, v4
	v_mov_b32_e32 v12, 0x41401f1c
	v_fmac_f32_e32 v12, v4, v5
	;; [unrolled: 2-line block ×14, first 2 shown]
	v_fma_f32 v12, v4, v12, 1.0
	v_fma_f32 v4, v4, v5, 1.0
	v_div_scale_f32 v5, s[4:5], v12, v12, v4
	v_rcp_f32_e32 v13, v5
	v_cmp_gt_f32_e64 s[4:5], s18, v2
	v_fma_f32 v15, -v5, v13, 1.0
	v_fmac_f32_e32 v13, v15, v13
	v_div_scale_f32 v15, vcc, v4, v12, v4
	v_mul_f32_e32 v16, v15, v13
	v_fma_f32 v17, -v5, v16, v15
	v_fmac_f32_e32 v16, v17, v13
	v_fma_f32 v5, -v5, v16, v15
	v_mul_f32_e32 v15, 0x4f800000, v2
	v_cndmask_b32_e64 v2, v2, v15, s[4:5]
	v_sqrt_f32_e32 v15, v2
	v_div_fmas_f32 v5, v5, v13, v16
	v_div_fixup_f32 v4, v5, v12, v4
	v_add_u32_e32 v5, -1, v15
	v_fma_f32 v12, -v5, v15, v2
	v_cmp_ge_f32_e32 vcc, 0, v12
	v_add_u32_e32 v12, 1, v15
	v_fma_f32 v13, -v12, v15, v2
	v_cndmask_b32_e32 v5, v15, v5, vcc
	v_cmp_lt_f32_e32 vcc, 0, v13
	v_cndmask_b32_e32 v5, v5, v12, vcc
	v_mul_f32_e32 v12, 0x37800000, v5
	v_cndmask_b32_e64 v5, v5, v12, s[4:5]
	v_cmp_class_f32_e32 vcc, v2, v10
	v_cndmask_b32_e32 v5, v5, v2, vcc
	s_mov_b32 s4, 0x3fb8aa3b
	v_mul_f32_e32 v2, 0x3fb8aa3b, v11
	v_fma_f32 v10, v11, s4, -v2
	v_rndne_f32_e32 v12, v2
	v_fmac_f32_e32 v10, 0x32a5705f, v11
	v_sub_f32_e32 v2, v2, v12
	v_add_f32_e32 v2, v2, v10
	v_exp_f32_e32 v2, v2
	v_cvt_i32_f32_e32 v10, v12
	s_mov_b32 s4, 0x3f106ebb
	s_mov_b32 s5, 2.0
	v_pk_mul_f32 v[4:5], v[4:5], s[4:5]
	s_mov_b32 s4, 0xc2ce8ed0
	v_ldexp_f32 v2, v2, v10
	v_cmp_ngt_f32_e32 vcc, s4, v11
	s_mov_b32 s4, 0x42b17218
	v_cndmask_b32_e32 v2, 0, v2, vcc
	v_mov_b32_e32 v10, 0x7f800000
	v_cmp_nlt_f32_e32 vcc, s4, v11
	v_cndmask_b32_e32 v2, v10, v2, vcc
	v_mul_f32_e32 v2, v5, v2
	v_div_scale_f32 v5, s[4:5], v2, v2, v4
	v_rcp_f32_e32 v10, v5
	s_mov_b32 s4, 0x41052018
	v_fma_f32 v11, -v5, v10, 1.0
	v_fmac_f32_e32 v10, v11, v10
	v_div_scale_f32 v11, vcc, v4, v2, v4
	v_mul_f32_e32 v12, v11, v10
	v_fma_f32 v13, -v5, v12, v11
	v_fmac_f32_e32 v12, v13, v10
	v_fma_f32 v5, -v5, v12, v11
	v_div_fmas_f32 v5, v5, v10, v12
	v_cmp_nlt_f32_e32 vcc, s4, v6
	s_andn2_b64 s[4:5], s[8:9], exec
	s_and_b64 s[18:19], vcc, exec
	v_div_fixup_f32 v2, v5, v2, v4
	s_or_b64 s[4:5], s[4:5], s[18:19]
.LBB13_5:
	s_or_b64 exec, exec, s[16:17]
	s_and_saveexec_b64 s[16:17], s[4:5]
	s_cbranch_execz .LBB13_9
; %bb.6:
	v_mul_f32_e32 v4, v6, v6
	v_mul_f32_e32 v4, v6, v4
	v_mov_b32_e32 v5, v4
	s_mov_b64 s[18:19], 0
	v_mov_b32_e32 v15, 1.0
	s_brev_b32 s20, 44
	v_mov_b32_e32 v10, 1.0
	v_mov_b32_e32 v11, v6
	v_mov_b32_e32 v12, 1.0
	v_mov_b32_e32 v13, v6
.LBB13_7:                               ; =>This Inner Loop Header: Depth=1
	v_pk_mul_f32 v[12:13], v[4:5], v[12:13]
	v_add_f32_e32 v16, 1.0, v15
	v_add_f32_e32 v17, 1.0, v16
	v_div_scale_f32 v18, s[4:5], v16, v16, v12
	v_rcp_f32_e32 v20, v18
	v_div_scale_f32 v21, s[4:5], v17, v17, v13
	v_rcp_f32_e32 v23, v21
	v_fma_f32 v24, -v18, v20, 1.0
	v_div_scale_f32 v19, vcc, v12, v16, v12
	v_fmac_f32_e32 v20, v24, v20
	v_fma_f32 v24, -v21, v23, 1.0
	v_div_scale_f32 v22, s[4:5], v13, v17, v13
	v_mul_f32_e32 v25, v19, v20
	v_fmac_f32_e32 v23, v24, v23
	v_fma_f32 v24, -v18, v25, v19
	v_mul_f32_e32 v26, v22, v23
	v_fmac_f32_e32 v25, v24, v20
	v_fma_f32 v24, -v21, v26, v22
	v_fma_f32 v18, -v18, v25, v19
	v_fmac_f32_e32 v26, v24, v23
	v_div_fmas_f32 v18, v18, v20, v25
	v_fma_f32 v19, -v21, v26, v22
	s_mov_b64 vcc, s[4:5]
	v_div_fixup_f32 v12, v18, v16, v12
	v_div_fmas_f32 v16, v19, v23, v26
	v_add_f32_e32 v15, 1.0, v17
	v_div_fixup_f32 v13, v16, v17, v13
	v_div_scale_f32 v16, s[4:5], v17, v17, v12
	v_div_scale_f32 v19, s[24:25], v15, v15, v13
	v_rcp_f32_e32 v21, v16
	v_rcp_f32_e32 v22, v19
	v_div_scale_f32 v18, s[4:5], v12, v17, v12
	v_fma_f32 v23, -v16, v21, 1.0
	v_fma_f32 v24, -v19, v22, 1.0
	v_div_scale_f32 v20, vcc, v13, v15, v13
	v_fmac_f32_e32 v21, v23, v21
	v_fmac_f32_e32 v22, v24, v22
	v_mul_f32_e32 v23, v18, v21
	v_mul_f32_e32 v24, v20, v22
	v_fma_f32 v25, -v16, v23, v18
	v_fma_f32 v26, -v19, v24, v20
	v_fmac_f32_e32 v23, v25, v21
	v_fmac_f32_e32 v24, v26, v22
	v_fma_f32 v16, -v16, v23, v18
	v_fma_f32 v18, -v19, v24, v20
	v_div_fmas_f32 v18, v18, v22, v24
	s_mov_b64 vcc, s[4:5]
	v_div_fmas_f32 v16, v16, v21, v23
	v_div_fixup_f32 v13, v18, v15, v13
	v_div_fixup_f32 v12, v16, v17, v12
	v_pk_add_f32 v[10:11], v[10:11], v[12:13]
	v_div_scale_f32 v16, s[4:5], v10, v10, v12
	v_rcp_f32_e32 v17, v16
	v_div_scale_f32 v18, vcc, v12, v10, v12
	v_fma_f32 v19, -v16, v17, 1.0
	v_fmac_f32_e32 v17, v19, v17
	v_mul_f32_e32 v19, v18, v17
	v_fma_f32 v20, -v16, v19, v18
	v_fmac_f32_e32 v19, v20, v17
	v_fma_f32 v16, -v16, v19, v18
	v_div_fmas_f32 v16, v16, v17, v19
	v_div_fixup_f32 v16, v16, v10, v12
	v_cmp_ngt_f32_e64 s[4:5], |v16|, s20
	s_or_b64 s[18:19], s[4:5], s[18:19]
	s_andn2_b64 exec, exec, s[18:19]
	s_cbranch_execnz .LBB13_7
; %bb.8:
	s_or_b64 exec, exec, s[18:19]
	s_mov_b32 s4, 0x3eb5c63d
	s_mov_b32 s5, 0x3e8483fa
	v_pk_mul_f32 v[4:5], v[10:11], s[4:5]
	v_sub_f32_e32 v4, v4, v5
	v_cndmask_b32_e64 v2, v2, v4, s[8:9]
.LBB13_9:
	s_or_b64 exec, exec, s[16:17]
.LBB13_10:
	s_andn2_saveexec_b64 s[16:17], s[6:7]
	s_cbranch_execz .LBB13_20
; %bb.11:
	s_mov_b32 s4, 0x8f800000
	v_mul_f32_e32 v2, 0xcf800000, v6
	v_cmp_lt_f32_e32 vcc, s4, v6
	v_cndmask_b32_e64 v2, -v6, v2, vcc
	v_sqrt_f32_e32 v4, v2
	v_mul_f32_e32 v5, -2.0, v6
	s_mov_b32 s6, 0x40400000
	v_add_u32_e32 v6, -1, v4
	v_fma_f32 v10, -v6, v4, v2
	v_cmp_ge_f32_e64 s[4:5], 0, v10
	v_add_u32_e32 v10, 1, v4
	v_cndmask_b32_e64 v6, v4, v6, s[4:5]
	v_fma_f32 v4, -v10, v4, v2
	v_cmp_lt_f32_e64 s[4:5], 0, v4
	v_cndmask_b32_e64 v4, v6, v10, s[4:5]
	v_mul_f32_e32 v6, 0x37800000, v4
	v_cndmask_b32_e32 v4, v4, v6, vcc
	v_mov_b32_e32 v6, 0x260
	v_cmp_class_f32_e32 vcc, v2, v6
	v_cndmask_b32_e32 v2, v4, v2, vcc
	v_mul_f32_e32 v4, v5, v2
	v_div_scale_f32 v5, s[4:5], s6, s6, v4
	v_rcp_f32_e32 v6, v5
	s_brev_b32 s4, 18
	v_fma_f32 v10, -v5, v6, 1.0
	v_fmac_f32_e32 v6, v10, v6
	v_div_scale_f32 v10, vcc, v4, s6, v4
	v_mul_f32_e32 v11, v10, v6
	v_fma_f32 v12, -v5, v11, v10
	v_fmac_f32_e32 v11, v12, v6
	v_fma_f32 v5, -v5, v11, v10
	v_div_fmas_f32 v5, v5, v6, v11
	v_div_fixup_f32 v6, v5, s6, v4
	v_add_f32_e32 v4, 0x3f490fdb, v6
	v_and_b32_e32 v5, 0x7fffffff, v4
	v_cmp_nlt_f32_e64 s[18:19], |v4|, s4
	v_lshrrev_b32_e32 v15, 23, v5
                                        ; implicit-def: $vgpr10
                                        ; implicit-def: $vgpr11
	s_and_saveexec_b64 s[4:5], s[18:19]
	s_xor_b64 s[20:21], exec, s[4:5]
	s_cbranch_execz .LBB13_13
; %bb.12:
	v_add_u32_e32 v10, 0xffffff88, v15
	v_not_b32_e32 v12, 63
	v_cmp_lt_u32_e32 vcc, 63, v10
	v_cndmask_b32_e32 v12, 0, v12, vcc
	v_add_u32_e32 v10, v12, v10
	v_not_b32_e32 v12, 31
	v_cmp_lt_u32_e64 s[4:5], 31, v10
	v_cndmask_b32_e64 v13, 0, v12, s[4:5]
	v_add_u32_e32 v10, v13, v10
	v_cmp_lt_u32_e64 s[6:7], 31, v10
	v_cndmask_b32_e64 v12, 0, v12, s[6:7]
	v_add_u32_e32 v26, v12, v10
	v_and_b32_e32 v10, 0x7fffff, v5
	v_or_b32_e32 v27, 0x800000, v10
	s_mov_b32 s8, 0xfe5163ab
	v_mad_u64_u32 v[12:13], s[8:9], v27, s8, 0
	v_mov_b32_e32 v11, 0
	v_mov_b32_e32 v10, v13
	s_mov_b32 s8, 0x3c439041
	v_mad_u64_u32 v[16:17], s[8:9], v27, s8, v[10:11]
	v_mov_b32_e32 v10, v17
	s_mov_b32 s8, 0xdb629599
	v_mad_u64_u32 v[18:19], s[8:9], v27, s8, v[10:11]
	;; [unrolled: 3-line block ×6, first 2 shown]
	v_cndmask_b32_e32 v13, v24, v20, vcc
	v_cndmask_b32_e32 v10, v10, v22, vcc
	;; [unrolled: 1-line block ×3, first 2 shown]
	v_cndmask_b32_e64 v17, v10, v13, s[4:5]
	v_cndmask_b32_e64 v10, v11, v10, s[4:5]
	v_cndmask_b32_e32 v11, v22, v18, vcc
	v_cndmask_b32_e64 v13, v13, v11, s[4:5]
	v_cndmask_b32_e32 v16, v20, v16, vcc
	v_cndmask_b32_e64 v10, v10, v17, s[6:7]
	v_cndmask_b32_e64 v17, v17, v13, s[6:7]
	v_sub_u32_e32 v19, 32, v26
	v_cndmask_b32_e64 v11, v11, v16, s[4:5]
	v_alignbit_b32 v21, v10, v17, v19
	v_cmp_eq_u32_e64 s[8:9], 0, v26
	v_cndmask_b32_e64 v13, v13, v11, s[6:7]
	v_cndmask_b32_e64 v10, v21, v10, s[8:9]
	v_alignbit_b32 v20, v17, v13, v19
	v_cndmask_b32_e64 v17, v20, v17, s[8:9]
	v_bfe_u32 v22, v10, 29, 1
	v_cndmask_b32_e32 v12, v18, v12, vcc
	v_alignbit_b32 v20, v10, v17, 30
	v_sub_u32_e32 v23, 0, v22
	v_cndmask_b32_e64 v12, v16, v12, s[4:5]
	v_xor_b32_e32 v24, v20, v23
	v_cndmask_b32_e64 v11, v11, v12, s[6:7]
	v_alignbit_b32 v12, v13, v11, v19
	v_ffbh_u32_e32 v16, v24
	v_cndmask_b32_e64 v12, v12, v13, s[8:9]
	v_add_u32_e32 v16, 1, v16
	v_cmp_ne_u32_e32 vcc, v20, v23
	v_alignbit_b32 v13, v17, v12, 30
	v_cndmask_b32_e32 v16, 33, v16, vcc
	v_alignbit_b32 v11, v12, v11, 30
	v_xor_b32_e32 v13, v13, v23
	v_sub_u32_e32 v17, 32, v16
	v_xor_b32_e32 v11, v11, v23
	v_alignbit_b32 v18, v24, v13, v17
	v_alignbit_b32 v11, v13, v11, v17
	;; [unrolled: 1-line block ×3, first 2 shown]
	v_ffbh_u32_e32 v13, v12
	v_min_u32_e32 v13, 32, v13
	v_lshrrev_b32_e32 v21, 29, v10
	v_sub_u32_e32 v17, 31, v13
	v_alignbit_b32 v11, v12, v11, v17
	v_lshlrev_b32_e32 v12, 31, v21
	v_or_b32_e32 v17, 0x33800000, v12
	v_add_lshl_u32 v13, v13, v16, 23
	v_lshrrev_b32_e32 v11, 9, v11
	v_sub_u32_e32 v13, v17, v13
	v_or_b32_e32 v11, v13, v11
	v_alignbit_b32 v13, v16, v18, 9
	v_or_b32_e32 v12, v13, v12
	v_xor_b32_e32 v12, 1.0, v12
	s_mov_b32 s4, 0x3fc90fda
	v_mul_f32_e32 v13, 0x3fc90fda, v12
	v_fma_f32 v16, v12, s4, -v13
	v_fmac_f32_e32 v16, 0x33a22168, v12
	v_fmac_f32_e32 v16, 0x3fc90fda, v11
	v_lshrrev_b32_e32 v10, 30, v10
	v_add_f32_e32 v11, v13, v16
	v_add_u32_e32 v10, v22, v10
	s_andn2_saveexec_b64 s[4:5], s[20:21]
	s_branch .LBB13_14
.LBB13_13:
	s_andn2_saveexec_b64 s[4:5], s[20:21]
.LBB13_14:
	s_mov_b32 s6, 0x3f22f983
	v_mul_f32_e64 v10, |v4|, s6
	v_rndne_f32_e32 v12, v10
	s_mov_b32 s6, 0xbfc90fda
	v_cvt_i32_f32_e32 v10, v12
	v_fma_f32 v11, v12, s6, |v4|
	v_fmac_f32_e32 v11, 0xb3a22168, v12
	v_fmac_f32_e32 v11, 0xa7c234c4, v12
; %bb.15:
	s_or_b64 exec, exec, s[4:5]
                                        ; implicit-def: $vgpr12
                                        ; implicit-def: $vgpr13
	s_and_saveexec_b64 s[4:5], s[18:19]
	s_xor_b64 s[18:19], exec, s[4:5]
	s_cbranch_execz .LBB13_17
; %bb.16:
	v_add_u32_e32 v12, 0xffffff88, v15
	v_not_b32_e32 v15, 63
	v_cmp_lt_u32_e32 vcc, 63, v12
	v_cndmask_b32_e32 v15, 0, v15, vcc
	v_add_u32_e32 v12, v15, v12
	v_not_b32_e32 v15, 31
	v_cmp_lt_u32_e64 s[4:5], 31, v12
	v_cndmask_b32_e64 v16, 0, v15, s[4:5]
	v_add_u32_e32 v12, v16, v12
	v_cmp_lt_u32_e64 s[6:7], 31, v12
	v_cndmask_b32_e64 v15, 0, v15, s[6:7]
	v_add_u32_e32 v15, v15, v12
	v_and_b32_e32 v12, 0x7fffff, v5
	v_or_b32_e32 v28, 0x800000, v12
	s_mov_b32 s8, 0xfe5163ab
	v_mad_u64_u32 v[16:17], s[8:9], v28, s8, 0
	v_mov_b32_e32 v13, 0
	v_mov_b32_e32 v12, v17
	s_mov_b32 s8, 0x3c439041
	v_mad_u64_u32 v[18:19], s[8:9], v28, s8, v[12:13]
	v_mov_b32_e32 v12, v19
	s_mov_b32 s8, 0xdb629599
	v_mad_u64_u32 v[20:21], s[8:9], v28, s8, v[12:13]
	;; [unrolled: 3-line block ×6, first 2 shown]
	v_cndmask_b32_e32 v17, v26, v22, vcc
	v_cndmask_b32_e32 v12, v12, v24, vcc
	;; [unrolled: 1-line block ×3, first 2 shown]
	v_cndmask_b32_e64 v19, v12, v17, s[4:5]
	v_cndmask_b32_e64 v12, v13, v12, s[4:5]
	v_cndmask_b32_e32 v13, v24, v20, vcc
	v_cndmask_b32_e64 v17, v17, v13, s[4:5]
	v_sub_u32_e32 v21, 32, v15
	v_cmp_eq_u32_e64 s[8:9], 0, v15
	v_cndmask_b32_e32 v15, v22, v18, vcc
	v_cndmask_b32_e64 v12, v12, v19, s[6:7]
	v_cndmask_b32_e64 v19, v19, v17, s[6:7]
	v_cndmask_b32_e64 v13, v13, v15, s[4:5]
	v_alignbit_b32 v23, v12, v19, v21
	v_cndmask_b32_e64 v17, v17, v13, s[6:7]
	v_cndmask_b32_e64 v12, v23, v12, s[8:9]
	v_alignbit_b32 v18, v19, v17, v21
	v_cndmask_b32_e32 v16, v20, v16, vcc
	v_cndmask_b32_e64 v18, v18, v19, s[8:9]
	v_bfe_u32 v23, v12, 29, 1
	v_cndmask_b32_e64 v15, v15, v16, s[4:5]
	v_alignbit_b32 v19, v12, v18, 30
	v_sub_u32_e32 v24, 0, v23
	v_cndmask_b32_e64 v13, v13, v15, s[6:7]
	v_xor_b32_e32 v25, v19, v24
	v_alignbit_b32 v15, v17, v13, v21
	v_cndmask_b32_e64 v15, v15, v17, s[8:9]
	v_ffbh_u32_e32 v17, v25
	v_add_u32_e32 v17, 1, v17
	v_cmp_ne_u32_e32 vcc, v19, v24
	v_alignbit_b32 v16, v18, v15, 30
	v_cndmask_b32_e32 v17, 33, v17, vcc
	v_alignbit_b32 v13, v15, v13, 30
	v_xor_b32_e32 v16, v16, v24
	v_sub_u32_e32 v18, 32, v17
	v_xor_b32_e32 v13, v13, v24
	v_alignbit_b32 v19, v25, v16, v18
	v_alignbit_b32 v13, v16, v13, v18
	;; [unrolled: 1-line block ×3, first 2 shown]
	v_ffbh_u32_e32 v16, v15
	v_min_u32_e32 v16, 32, v16
	v_lshrrev_b32_e32 v22, 29, v12
	v_sub_u32_e32 v18, 31, v16
	v_alignbit_b32 v13, v15, v13, v18
	v_lshlrev_b32_e32 v15, 31, v22
	v_or_b32_e32 v18, 0x33800000, v15
	v_add_lshl_u32 v16, v16, v17, 23
	v_lshrrev_b32_e32 v13, 9, v13
	v_sub_u32_e32 v16, v18, v16
	v_or_b32_e32 v13, v16, v13
	v_alignbit_b32 v16, v17, v19, 9
	v_or_b32_e32 v15, v16, v15
	v_xor_b32_e32 v15, 1.0, v15
	s_mov_b32 s4, 0x3fc90fda
	v_mul_f32_e32 v16, 0x3fc90fda, v15
	v_fma_f32 v17, v15, s4, -v16
	v_fmac_f32_e32 v17, 0x33a22168, v15
	v_fmac_f32_e32 v17, 0x3fc90fda, v13
	v_lshrrev_b32_e32 v12, 30, v12
	v_add_f32_e32 v13, v16, v17
	v_add_u32_e32 v12, v23, v12
	s_andn2_saveexec_b64 s[4:5], s[18:19]
	s_cbranch_execnz .LBB13_18
	s_branch .LBB13_19
.LBB13_17:
	s_andn2_saveexec_b64 s[4:5], s[18:19]
.LBB13_18:
	s_mov_b32 s6, 0x3f22f983
	v_mul_f32_e64 v12, |v4|, s6
	v_rndne_f32_e32 v15, v12
	s_mov_b32 s6, 0xbfc90fda
	v_cvt_i32_f32_e32 v12, v15
	v_fma_f32 v13, v15, s6, |v4|
	v_fmac_f32_e32 v13, 0xb3a22168, v15
	v_fmac_f32_e32 v13, 0xa7c234c4, v15
.LBB13_19:
	s_or_b64 exec, exec, s[4:5]
	v_div_scale_f32 v15, s[4:5], v6, v6, 1.0
	v_rcp_f32_e32 v16, v15
	v_div_scale_f32 v17, vcc, 1.0, v6, 1.0
	v_mov_b32_e32 v22, 0xbab64f3b
	v_fma_f32 v18, -v15, v16, 1.0
	v_fmac_f32_e32 v16, v18, v16
	v_mul_f32_e32 v18, v17, v16
	v_fma_f32 v19, -v15, v18, v17
	v_fmac_f32_e32 v18, v19, v16
	v_fma_f32 v15, -v15, v18, v17
	v_div_fmas_f32 v15, v15, v16, v18
	v_div_fixup_f32 v6, v15, v6, 1.0
	v_mul_f32_e32 v15, v6, v6
	v_mov_b32_e32 v16, 0xbe06db67
	v_fmac_f32_e32 v16, 0, v15
	v_mov_b32_e32 v17, 0xbf205f75
	v_fmac_f32_e32 v17, v15, v16
	;; [unrolled: 2-line block ×18, first 2 shown]
	v_mul_f32_e32 v17, v11, v11
	v_mov_b32_e32 v20, 0x3c0881c4
	v_fmac_f32_e32 v22, 0x37d75334, v17
	v_mov_b32_e32 v23, 0x3d2aabf7
	v_fmac_f32_e32 v20, 0xb94c1982, v17
	v_mov_b32_e32 v21, 0xbe2aaa9d
	v_fma_f32 v22, v17, v22, v23
	v_mov_b32_e32 v24, 0xbf000004
	v_fma_f32 v20, v17, v20, v21
	v_fma_f32 v22, v17, v22, v24
	v_mul_f32_e32 v20, v17, v20
	v_fma_f32 v17, v17, v22, 1.0
	v_and_b32_e32 v22, 1, v10
	v_lshlrev_b32_e32 v10, 30, v10
	v_fmac_f32_e32 v11, v11, v20
	v_cmp_eq_u32_e32 vcc, 0, v22
	v_and_b32_e32 v10, 0x80000000, v10
	v_xor_b32_e32 v5, v5, v4
	v_cndmask_b32_e32 v11, v17, v11, vcc
	v_xor_b32_e32 v5, v5, v10
	v_mul_f32_e32 v10, v15, v18
	v_xor_b32_e32 v5, v5, v11
	v_div_scale_f32 v11, s[4:5], v16, v16, v10
	v_rcp_f32_e32 v17, v11
	s_movk_i32 s6, 0x1f8
	v_mov_b32_e32 v18, 0x7fc00000
	v_cmp_class_f32_e64 s[4:5], v4, s6
	v_cndmask_b32_e64 v4, v18, v5, s[4:5]
	v_fma_f32 v5, -v11, v17, 1.0
	v_fmac_f32_e32 v17, v5, v17
	v_div_scale_f32 v5, vcc, v10, v16, v10
	v_mul_f32_e32 v22, v5, v17
	v_fma_f32 v25, -v11, v22, v5
	v_fmac_f32_e32 v22, v25, v17
	v_fma_f32 v5, -v11, v22, v5
	v_div_fmas_f32 v5, v5, v17, v22
	v_div_fixup_f32 v5, v5, v16, v10
	v_mov_b32_e32 v10, 0x3ca1a92f
	v_fmac_f32_e32 v10, 0, v15
	v_mov_b32_e32 v11, 0x3ec83ea8
	v_fmac_f32_e32 v11, v15, v10
	;; [unrolled: 2-line block ×17, first 2 shown]
	v_mov_b32_e32 v11, 0x3b873823
	s_mov_b32 s6, 0xf800000
	v_fmac_f32_e32 v11, v15, v16
	v_mul_f32_e32 v16, 0x4f800000, v2
	v_cmp_gt_f32_e32 vcc, s6, v2
	v_cndmask_b32_e32 v2, v2, v16, vcc
	v_sqrt_f32_e32 v16, v2
	s_mov_b32 s8, 0x3f106ebb
	v_mov_b32_e32 v17, 0x38d45b0f
	v_fmac_f32_e32 v17, v15, v11
	v_add_u32_e32 v22, -1, v16
	v_fma_f32 v25, -v22, v16, v2
	v_cmp_ge_f32_e64 s[6:7], 0, v25
	v_add_u32_e32 v25, 1, v16
	v_cndmask_b32_e64 v22, v16, v22, s[6:7]
	v_fma_f32 v16, -v25, v16, v2
	v_cmp_lt_f32_e64 s[6:7], 0, v16
	v_cndmask_b32_e64 v16, v22, v25, s[6:7]
	v_mul_f32_e32 v22, 0x37800000, v16
	v_cndmask_b32_e32 v16, v16, v22, vcc
	v_mov_b32_e32 v22, 0x260
	v_cmp_class_f32_e32 vcc, v2, v22
	v_cndmask_b32_e32 v2, v16, v2, vcc
	v_div_scale_f32 v16, s[6:7], v2, v2, s8
	v_rcp_f32_e32 v22, v16
	v_mov_b32_e32 v11, 0x359d422f
	v_fmac_f32_e32 v11, v15, v17
	v_mov_b32_e32 v17, 0x31a8fe3a
	v_fmac_f32_e32 v17, v15, v11
	v_fma_f32 v11, -v16, v22, 1.0
	v_fmac_f32_e32 v22, v11, v22
	v_div_scale_f32 v11, vcc, s8, v2, s8
	v_mul_f32_e32 v15, v11, v22
	v_fma_f32 v25, -v16, v15, v11
	v_fmac_f32_e32 v15, v25, v22
	v_fma_f32 v11, -v16, v15, v11
	v_div_fmas_f32 v11, v11, v22, v15
	v_mov_b32_e32 v19, 0x3c0881c4
	v_div_fixup_f32 v2, v11, v2, s8
	v_mul_f32_e32 v11, v13, v13
	v_mov_b32_e32 v20, 0xbab64f3b
	v_fmac_f32_e32 v19, 0xb94c1982, v11
	v_fmac_f32_e32 v21, v11, v19
	;; [unrolled: 1-line block ×3, first 2 shown]
	v_mul_f32_e32 v15, v11, v21
	v_fmac_f32_e32 v23, v11, v20
	v_fmac_f32_e32 v13, v13, v15
	;; [unrolled: 1-line block ×3, first 2 shown]
	v_and_b32_e32 v15, 1, v12
	v_mul_f32_e32 v6, v6, v10
	v_fma_f32 v11, v11, v24, 1.0
	v_cmp_eq_u32_e32 vcc, 0, v15
	v_div_scale_f32 v10, s[6:7], v17, v17, v6
	v_cndmask_b32_e64 v11, -v13, v11, vcc
	v_rcp_f32_e32 v13, v10
	v_lshlrev_b32_e32 v12, 30, v12
	v_and_b32_e32 v12, 0x80000000, v12
	v_xor_b32_e32 v11, v12, v11
	v_fma_f32 v12, -v10, v13, 1.0
	v_fmac_f32_e32 v13, v12, v13
	v_div_scale_f32 v12, vcc, v6, v17, v6
	v_mul_f32_e32 v15, v12, v13
	v_fma_f32 v16, -v10, v15, v12
	v_fmac_f32_e32 v15, v16, v13
	v_fma_f32 v10, -v10, v15, v12
	v_div_fmas_f32 v10, v10, v13, v15
	v_cndmask_b32_e64 v11, v18, v11, s[4:5]
	v_div_fixup_f32 v6, v10, v17, v6
	v_add_f32_e32 v5, 1.0, v5
	v_mul_f32_e32 v6, v6, v11
	v_fma_f32 v4, v5, v4, -v6
	v_mul_f32_e32 v2, v2, v4
.LBB13_20:
	s_or_b64 exec, exec, s[16:17]
.LBB13_21:
	s_or_b64 exec, exec, s[14:15]
.LBB13_22:
	s_or_b64 exec, exec, s[12:13]
	v_cmp_neq_f32_e64 s[4:5], |v7|, s22
	s_and_saveexec_b64 s[12:13], s[4:5]
	s_cbranch_execz .LBB13_44
; %bb.23:
	s_mov_b32 s4, 0x42cfc8b4
	v_cmp_nlt_f32_e32 vcc, s4, v7
	v_mov_b32_e32 v3, 0
	s_and_saveexec_b64 s[14:15], vcc
	s_cbranch_execz .LBB13_43
; %bb.24:
	s_mov_b32 s4, 0xc005c28f
	v_cmp_ngt_f32_e32 vcc, s4, v7
	s_and_saveexec_b64 s[4:5], vcc
	s_xor_b64 s[6:7], exec, s[4:5]
	s_cbranch_execz .LBB13_32
; %bb.25:
	s_mov_b32 s4, 0x4005c28f
	v_cmp_nle_f32_e64 s[8:9], s4, v7
	v_cmp_le_f32_e32 vcc, s4, v7
	v_mov_b32_e32 v3, 0
	s_mov_b64 s[4:5], s[8:9]
	s_and_saveexec_b64 s[16:17], vcc
	s_cbranch_execz .LBB13_27
; %bb.26:
	s_mov_b32 s18, 0xf800000
	v_mul_f32_e32 v3, 0x4f800000, v7
	v_cmp_gt_f32_e32 vcc, s18, v7
	v_cndmask_b32_e32 v3, v7, v3, vcc
	v_sqrt_f32_e32 v4, v3
	v_add_f32_e32 v5, v7, v7
	s_mov_b32 s19, 0x40400000
	v_add_u32_e32 v6, -1, v4
	v_fma_f32 v10, -v6, v4, v3
	v_cmp_ge_f32_e64 s[4:5], 0, v10
	v_add_u32_e32 v10, 1, v4
	v_cndmask_b32_e64 v6, v4, v6, s[4:5]
	v_fma_f32 v4, -v10, v4, v3
	v_cmp_lt_f32_e64 s[4:5], 0, v4
	v_cndmask_b32_e64 v4, v6, v10, s[4:5]
	v_mul_f32_e32 v6, 0x37800000, v4
	v_cndmask_b32_e32 v4, v4, v6, vcc
	v_mov_b32_e32 v6, 0x260
	v_cmp_class_f32_e32 vcc, v3, v6
	v_cndmask_b32_e32 v3, v4, v3, vcc
	v_mul_f32_e32 v4, v5, v3
	v_div_scale_f32 v5, s[4:5], s19, s19, v4
	v_rcp_f32_e32 v10, v5
	v_fma_f32 v11, -v5, v10, 1.0
	v_fmac_f32_e32 v10, v11, v10
	v_div_scale_f32 v11, vcc, v4, s19, v4
	v_mul_f32_e32 v12, v11, v10
	v_fma_f32 v13, -v5, v12, v11
	v_fmac_f32_e32 v12, v13, v10
	v_fma_f32 v5, -v5, v12, v11
	v_div_fmas_f32 v5, v5, v10, v12
	v_div_fixup_f32 v10, v5, s19, v4
	v_div_scale_f32 v4, s[4:5], v10, v10, 1.0
	v_rcp_f32_e32 v5, v4
	v_fma_f32 v11, -v4, v5, 1.0
	v_fmac_f32_e32 v5, v11, v5
	v_div_scale_f32 v11, vcc, 1.0, v10, 1.0
	v_mul_f32_e32 v12, v11, v5
	v_fma_f32 v13, -v4, v12, v11
	v_fmac_f32_e32 v12, v13, v5
	v_fma_f32 v4, -v4, v12, v11
	v_div_fmas_f32 v4, v4, v5, v12
	v_div_fixup_f32 v4, v4, v10, 1.0
	v_mov_b32_e32 v5, 0x3eb16d71
	v_fmac_f32_e32 v5, 0, v4
	v_mov_b32_e32 v11, 0x41401f1c
	v_fmac_f32_e32 v11, v4, v5
	;; [unrolled: 2-line block ×14, first 2 shown]
	v_fma_f32 v11, v4, v11, 1.0
	v_fma_f32 v4, v4, v5, 1.0
	v_div_scale_f32 v5, s[4:5], v11, v11, v4
	v_rcp_f32_e32 v12, v5
	v_cmp_gt_f32_e64 s[4:5], s18, v3
	v_fma_f32 v13, -v5, v12, 1.0
	v_fmac_f32_e32 v12, v13, v12
	v_div_scale_f32 v13, vcc, v4, v11, v4
	v_mul_f32_e32 v15, v13, v12
	v_fma_f32 v16, -v5, v15, v13
	v_fmac_f32_e32 v15, v16, v12
	v_fma_f32 v5, -v5, v15, v13
	v_mul_f32_e32 v13, 0x4f800000, v3
	v_cndmask_b32_e64 v3, v3, v13, s[4:5]
	v_sqrt_f32_e32 v13, v3
	v_div_fmas_f32 v5, v5, v12, v15
	v_div_fixup_f32 v4, v5, v11, v4
	v_add_u32_e32 v5, -1, v13
	v_fma_f32 v11, -v5, v13, v3
	v_cmp_ge_f32_e32 vcc, 0, v11
	v_add_u32_e32 v11, 1, v13
	v_fma_f32 v12, -v11, v13, v3
	v_cndmask_b32_e32 v5, v13, v5, vcc
	v_cmp_lt_f32_e32 vcc, 0, v12
	v_cndmask_b32_e32 v5, v5, v11, vcc
	v_mul_f32_e32 v11, 0x37800000, v5
	v_cndmask_b32_e64 v5, v5, v11, s[4:5]
	v_cmp_class_f32_e32 vcc, v3, v6
	v_cndmask_b32_e32 v5, v5, v3, vcc
	s_mov_b32 s4, 0x3fb8aa3b
	v_mul_f32_e32 v3, 0x3fb8aa3b, v10
	v_fma_f32 v6, v10, s4, -v3
	v_rndne_f32_e32 v11, v3
	v_fmac_f32_e32 v6, 0x32a5705f, v10
	v_sub_f32_e32 v3, v3, v11
	v_add_f32_e32 v3, v3, v6
	v_exp_f32_e32 v3, v3
	v_cvt_i32_f32_e32 v6, v11
	s_mov_b32 s4, 0x3f106ebb
	s_mov_b32 s5, 2.0
	v_pk_mul_f32 v[4:5], v[4:5], s[4:5]
	s_mov_b32 s4, 0xc2ce8ed0
	v_ldexp_f32 v3, v3, v6
	v_cmp_ngt_f32_e32 vcc, s4, v10
	s_mov_b32 s4, 0x42b17218
	v_cndmask_b32_e32 v3, 0, v3, vcc
	v_mov_b32_e32 v6, 0x7f800000
	v_cmp_nlt_f32_e32 vcc, s4, v10
	v_cndmask_b32_e32 v3, v6, v3, vcc
	v_mul_f32_e32 v3, v5, v3
	v_div_scale_f32 v5, s[4:5], v3, v3, v4
	v_rcp_f32_e32 v6, v5
	s_mov_b32 s4, 0x41052018
	v_fma_f32 v10, -v5, v6, 1.0
	v_fmac_f32_e32 v6, v10, v6
	v_div_scale_f32 v10, vcc, v4, v3, v4
	v_mul_f32_e32 v11, v10, v6
	v_fma_f32 v12, -v5, v11, v10
	v_fmac_f32_e32 v11, v12, v6
	v_fma_f32 v5, -v5, v11, v10
	v_div_fmas_f32 v5, v5, v6, v11
	v_cmp_nlt_f32_e32 vcc, s4, v7
	s_andn2_b64 s[4:5], s[8:9], exec
	s_and_b64 s[18:19], vcc, exec
	v_div_fixup_f32 v3, v5, v3, v4
	s_or_b64 s[4:5], s[4:5], s[18:19]
.LBB13_27:
	s_or_b64 exec, exec, s[16:17]
	s_and_saveexec_b64 s[16:17], s[4:5]
	s_cbranch_execz .LBB13_31
; %bb.28:
	v_mul_f32_e32 v4, v7, v7
	v_mul_f32_e32 v4, v7, v4
	v_mov_b32_e32 v5, v4
	s_mov_b64 s[18:19], 0
	v_mov_b32_e32 v6, 1.0
	s_brev_b32 s20, 44
	v_mov_b32_e32 v10, 1.0
	v_mov_b32_e32 v11, v7
	v_mov_b32_e32 v12, 1.0
	v_mov_b32_e32 v13, v7
.LBB13_29:                              ; =>This Inner Loop Header: Depth=1
	v_pk_mul_f32 v[12:13], v[4:5], v[12:13]
	v_add_f32_e32 v15, 1.0, v6
	v_add_f32_e32 v16, 1.0, v15
	v_div_scale_f32 v17, s[4:5], v15, v15, v12
	v_rcp_f32_e32 v19, v17
	v_div_scale_f32 v20, s[4:5], v16, v16, v13
	v_rcp_f32_e32 v22, v20
	v_fma_f32 v23, -v17, v19, 1.0
	v_div_scale_f32 v18, vcc, v12, v15, v12
	v_fmac_f32_e32 v19, v23, v19
	v_fma_f32 v23, -v20, v22, 1.0
	v_div_scale_f32 v21, s[4:5], v13, v16, v13
	v_mul_f32_e32 v24, v18, v19
	v_fmac_f32_e32 v22, v23, v22
	v_fma_f32 v23, -v17, v24, v18
	v_mul_f32_e32 v25, v21, v22
	v_fmac_f32_e32 v24, v23, v19
	v_fma_f32 v23, -v20, v25, v21
	v_fma_f32 v17, -v17, v24, v18
	v_fmac_f32_e32 v25, v23, v22
	v_div_fmas_f32 v17, v17, v19, v24
	v_fma_f32 v18, -v20, v25, v21
	s_mov_b64 vcc, s[4:5]
	v_div_fixup_f32 v12, v17, v15, v12
	v_div_fmas_f32 v15, v18, v22, v25
	v_add_f32_e32 v6, 1.0, v16
	v_div_fixup_f32 v13, v15, v16, v13
	v_div_scale_f32 v15, s[4:5], v16, v16, v12
	v_div_scale_f32 v18, s[22:23], v6, v6, v13
	v_rcp_f32_e32 v20, v15
	v_rcp_f32_e32 v21, v18
	v_div_scale_f32 v17, s[4:5], v12, v16, v12
	v_fma_f32 v22, -v15, v20, 1.0
	v_fma_f32 v23, -v18, v21, 1.0
	v_div_scale_f32 v19, vcc, v13, v6, v13
	v_fmac_f32_e32 v20, v22, v20
	v_fmac_f32_e32 v21, v23, v21
	v_mul_f32_e32 v22, v17, v20
	v_mul_f32_e32 v23, v19, v21
	v_fma_f32 v24, -v15, v22, v17
	v_fma_f32 v25, -v18, v23, v19
	v_fmac_f32_e32 v22, v24, v20
	v_fmac_f32_e32 v23, v25, v21
	v_fma_f32 v15, -v15, v22, v17
	v_fma_f32 v17, -v18, v23, v19
	v_div_fmas_f32 v17, v17, v21, v23
	s_mov_b64 vcc, s[4:5]
	v_div_fmas_f32 v15, v15, v20, v22
	v_div_fixup_f32 v13, v17, v6, v13
	v_div_fixup_f32 v12, v15, v16, v12
	v_pk_add_f32 v[10:11], v[10:11], v[12:13]
	v_div_scale_f32 v15, s[4:5], v10, v10, v12
	v_rcp_f32_e32 v16, v15
	v_div_scale_f32 v17, vcc, v12, v10, v12
	v_fma_f32 v18, -v15, v16, 1.0
	v_fmac_f32_e32 v16, v18, v16
	v_mul_f32_e32 v18, v17, v16
	v_fma_f32 v19, -v15, v18, v17
	v_fmac_f32_e32 v18, v19, v16
	v_fma_f32 v15, -v15, v18, v17
	v_div_fmas_f32 v15, v15, v16, v18
	v_div_fixup_f32 v15, v15, v10, v12
	v_cmp_ngt_f32_e64 s[4:5], |v15|, s20
	s_or_b64 s[18:19], s[4:5], s[18:19]
	s_andn2_b64 exec, exec, s[18:19]
	s_cbranch_execnz .LBB13_29
; %bb.30:
	s_or_b64 exec, exec, s[18:19]
	s_mov_b32 s4, 0x3eb5c63d
	s_mov_b32 s5, 0x3e8483fa
	v_pk_mul_f32 v[4:5], v[10:11], s[4:5]
	v_sub_f32_e32 v4, v4, v5
	v_cndmask_b32_e64 v3, v3, v4, s[8:9]
.LBB13_31:
	s_or_b64 exec, exec, s[16:17]
.LBB13_32:
	s_andn2_saveexec_b64 s[16:17], s[6:7]
	s_cbranch_execz .LBB13_42
; %bb.33:
	s_mov_b32 s4, 0x8f800000
	v_mul_f32_e32 v3, 0xcf800000, v7
	v_cmp_lt_f32_e32 vcc, s4, v7
	v_cndmask_b32_e64 v3, -v7, v3, vcc
	v_sqrt_f32_e32 v4, v3
	v_mul_f32_e32 v5, -2.0, v7
	s_mov_b32 s6, 0x40400000
	v_add_u32_e32 v6, -1, v4
	v_fma_f32 v7, -v6, v4, v3
	v_cmp_ge_f32_e64 s[4:5], 0, v7
	v_add_u32_e32 v7, 1, v4
	v_cndmask_b32_e64 v6, v4, v6, s[4:5]
	v_fma_f32 v4, -v7, v4, v3
	v_cmp_lt_f32_e64 s[4:5], 0, v4
	v_cndmask_b32_e64 v4, v6, v7, s[4:5]
	v_mul_f32_e32 v6, 0x37800000, v4
	v_cndmask_b32_e32 v4, v4, v6, vcc
	v_mov_b32_e32 v6, 0x260
	v_cmp_class_f32_e32 vcc, v3, v6
	v_cndmask_b32_e32 v3, v4, v3, vcc
	v_mul_f32_e32 v4, v5, v3
	v_div_scale_f32 v5, s[4:5], s6, s6, v4
	v_rcp_f32_e32 v6, v5
	s_brev_b32 s4, 18
	v_fma_f32 v7, -v5, v6, 1.0
	v_fmac_f32_e32 v6, v7, v6
	v_div_scale_f32 v7, vcc, v4, s6, v4
	v_mul_f32_e32 v10, v7, v6
	v_fma_f32 v11, -v5, v10, v7
	v_fmac_f32_e32 v10, v11, v6
	v_fma_f32 v5, -v5, v10, v7
	v_div_fmas_f32 v5, v5, v6, v10
	v_div_fixup_f32 v6, v5, s6, v4
	v_add_f32_e32 v4, 0x3f490fdb, v6
	v_and_b32_e32 v5, 0x7fffffff, v4
	v_cmp_nlt_f32_e64 s[18:19], |v4|, s4
	v_lshrrev_b32_e32 v13, 23, v5
                                        ; implicit-def: $vgpr7
                                        ; implicit-def: $vgpr10
	s_and_saveexec_b64 s[4:5], s[18:19]
	s_xor_b64 s[20:21], exec, s[4:5]
	s_cbranch_execz .LBB13_35
; %bb.34:
	v_add_u32_e32 v7, 0xffffff88, v13
	v_not_b32_e32 v10, 63
	v_cmp_lt_u32_e32 vcc, 63, v7
	v_cndmask_b32_e32 v10, 0, v10, vcc
	v_add_u32_e32 v7, v10, v7
	v_not_b32_e32 v10, 31
	v_cmp_lt_u32_e64 s[4:5], 31, v7
	v_cndmask_b32_e64 v12, 0, v10, s[4:5]
	v_add_u32_e32 v7, v12, v7
	v_cmp_lt_u32_e64 s[6:7], 31, v7
	v_cndmask_b32_e64 v10, 0, v10, s[6:7]
	v_add_u32_e32 v7, v10, v7
	v_and_b32_e32 v10, 0x7fffff, v5
	v_or_b32_e32 v12, 0x800000, v10
	s_mov_b32 s8, 0xfe5163ab
	v_mad_u64_u32 v[16:17], s[8:9], v12, s8, 0
	v_mov_b32_e32 v11, 0
	v_mov_b32_e32 v10, v17
	s_mov_b32 s8, 0x3c439041
	v_mad_u64_u32 v[18:19], s[8:9], v12, s8, v[10:11]
	v_mov_b32_e32 v10, v19
	s_mov_b32 s8, 0xdb629599
	v_mad_u64_u32 v[20:21], s[8:9], v12, s8, v[10:11]
	v_mov_b32_e32 v10, v21
	s_mov_b32 s8, 0xf534ddc0
	v_mad_u64_u32 v[22:23], s[8:9], v12, s8, v[10:11]
	v_mov_b32_e32 v10, v23
	s_mov_b32 s8, 0xfc2757d1
	v_mad_u64_u32 v[24:25], s[8:9], v12, s8, v[10:11]
	v_mov_b32_e32 v10, v25
	s_mov_b32 s8, 0x4e441529
	v_mad_u64_u32 v[26:27], s[8:9], v12, s8, v[10:11]
	v_mov_b32_e32 v10, v27
	s_mov_b32 s8, 0xa2f9836e
	v_mad_u64_u32 v[10:11], s[8:9], v12, s8, v[10:11]
	v_cndmask_b32_e32 v15, v26, v22, vcc
	v_cndmask_b32_e32 v10, v10, v24, vcc
	;; [unrolled: 1-line block ×3, first 2 shown]
	v_cndmask_b32_e64 v12, v10, v15, s[4:5]
	v_cndmask_b32_e64 v10, v11, v10, s[4:5]
	v_cndmask_b32_e32 v11, v24, v20, vcc
	v_cndmask_b32_e64 v15, v15, v11, s[4:5]
	v_cndmask_b32_e64 v10, v10, v12, s[6:7]
	;; [unrolled: 1-line block ×3, first 2 shown]
	v_sub_u32_e32 v17, 32, v7
	v_alignbit_b32 v19, v10, v12, v17
	v_cmp_eq_u32_e64 s[8:9], 0, v7
	v_cndmask_b32_e64 v7, v19, v10, s[8:9]
	v_cndmask_b32_e32 v10, v22, v18, vcc
	v_cndmask_b32_e64 v11, v11, v10, s[4:5]
	v_cndmask_b32_e64 v15, v15, v11, s[6:7]
	v_alignbit_b32 v18, v12, v15, v17
	v_cndmask_b32_e32 v16, v20, v16, vcc
	v_cndmask_b32_e64 v12, v18, v12, s[8:9]
	v_bfe_u32 v21, v7, 29, 1
	v_cndmask_b32_e64 v10, v10, v16, s[4:5]
	v_alignbit_b32 v18, v7, v12, 30
	v_sub_u32_e32 v22, 0, v21
	v_cndmask_b32_e64 v10, v11, v10, s[6:7]
	v_xor_b32_e32 v23, v18, v22
	v_alignbit_b32 v11, v15, v10, v17
	v_cndmask_b32_e64 v11, v11, v15, s[8:9]
	v_ffbh_u32_e32 v15, v23
	v_add_u32_e32 v15, 1, v15
	v_cmp_ne_u32_e32 vcc, v18, v22
	v_alignbit_b32 v12, v12, v11, 30
	v_cndmask_b32_e32 v15, 33, v15, vcc
	v_alignbit_b32 v10, v11, v10, 30
	v_xor_b32_e32 v12, v12, v22
	v_sub_u32_e32 v16, 32, v15
	v_xor_b32_e32 v10, v10, v22
	v_alignbit_b32 v17, v23, v12, v16
	v_alignbit_b32 v10, v12, v10, v16
	;; [unrolled: 1-line block ×3, first 2 shown]
	v_ffbh_u32_e32 v12, v11
	v_min_u32_e32 v12, 32, v12
	v_lshrrev_b32_e32 v19, 29, v7
	v_sub_u32_e32 v16, 31, v12
	v_alignbit_b32 v10, v11, v10, v16
	v_lshlrev_b32_e32 v11, 31, v19
	v_or_b32_e32 v16, 0x33800000, v11
	v_add_lshl_u32 v12, v12, v15, 23
	v_lshrrev_b32_e32 v10, 9, v10
	v_sub_u32_e32 v12, v16, v12
	v_or_b32_e32 v10, v12, v10
	v_alignbit_b32 v12, v15, v17, 9
	v_or_b32_e32 v11, v12, v11
	v_xor_b32_e32 v11, 1.0, v11
	s_mov_b32 s4, 0x3fc90fda
	v_mul_f32_e32 v12, 0x3fc90fda, v11
	v_fma_f32 v15, v11, s4, -v12
	v_fmac_f32_e32 v15, 0x33a22168, v11
	v_fmac_f32_e32 v15, 0x3fc90fda, v10
	v_lshrrev_b32_e32 v7, 30, v7
	v_add_f32_e32 v10, v12, v15
	v_add_u32_e32 v7, v21, v7
	s_andn2_saveexec_b64 s[4:5], s[20:21]
	s_branch .LBB13_36
.LBB13_35:
	s_andn2_saveexec_b64 s[4:5], s[20:21]
.LBB13_36:
	s_mov_b32 s6, 0x3f22f983
	v_mul_f32_e64 v7, |v4|, s6
	v_rndne_f32_e32 v11, v7
	s_mov_b32 s6, 0xbfc90fda
	v_cvt_i32_f32_e32 v7, v11
	v_fma_f32 v10, v11, s6, |v4|
	v_fmac_f32_e32 v10, 0xb3a22168, v11
	v_fmac_f32_e32 v10, 0xa7c234c4, v11
; %bb.37:
	s_or_b64 exec, exec, s[4:5]
                                        ; implicit-def: $vgpr11
                                        ; implicit-def: $vgpr12
	s_and_saveexec_b64 s[4:5], s[18:19]
	s_xor_b64 s[18:19], exec, s[4:5]
	s_cbranch_execz .LBB13_39
; %bb.38:
	v_add_u32_e32 v11, 0xffffff88, v13
	v_not_b32_e32 v12, 63
	v_cmp_lt_u32_e32 vcc, 63, v11
	v_cndmask_b32_e32 v12, 0, v12, vcc
	v_add_u32_e32 v11, v12, v11
	v_not_b32_e32 v12, 31
	v_cmp_lt_u32_e64 s[4:5], 31, v11
	v_cndmask_b32_e64 v15, 0, v12, s[4:5]
	v_add_u32_e32 v11, v15, v11
	v_cmp_lt_u32_e64 s[6:7], 31, v11
	v_cndmask_b32_e64 v12, 0, v12, s[6:7]
	v_add_u32_e32 v11, v12, v11
	v_and_b32_e32 v12, 0x7fffff, v5
	v_or_b32_e32 v15, 0x800000, v12
	s_mov_b32 s8, 0xfe5163ab
	v_mad_u64_u32 v[16:17], s[8:9], v15, s8, 0
	v_mov_b32_e32 v13, 0
	v_mov_b32_e32 v12, v17
	s_mov_b32 s8, 0x3c439041
	v_mad_u64_u32 v[18:19], s[8:9], v15, s8, v[12:13]
	v_mov_b32_e32 v12, v19
	s_mov_b32 s8, 0xdb629599
	v_mad_u64_u32 v[20:21], s[8:9], v15, s8, v[12:13]
	;; [unrolled: 3-line block ×6, first 2 shown]
	v_cndmask_b32_e32 v17, v26, v22, vcc
	v_cndmask_b32_e32 v12, v12, v24, vcc
	;; [unrolled: 1-line block ×3, first 2 shown]
	v_cndmask_b32_e64 v15, v12, v17, s[4:5]
	v_cndmask_b32_e64 v12, v13, v12, s[4:5]
	v_cndmask_b32_e32 v13, v24, v20, vcc
	v_cndmask_b32_e64 v17, v17, v13, s[4:5]
	v_cndmask_b32_e64 v12, v12, v15, s[6:7]
	;; [unrolled: 1-line block ×3, first 2 shown]
	v_sub_u32_e32 v19, 32, v11
	v_alignbit_b32 v21, v12, v15, v19
	v_cmp_eq_u32_e64 s[8:9], 0, v11
	v_cndmask_b32_e64 v11, v21, v12, s[8:9]
	v_cndmask_b32_e32 v12, v22, v18, vcc
	v_cndmask_b32_e64 v13, v13, v12, s[4:5]
	v_cndmask_b32_e64 v17, v17, v13, s[6:7]
	v_alignbit_b32 v18, v15, v17, v19
	v_cndmask_b32_e64 v15, v18, v15, s[8:9]
	v_bfe_u32 v22, v11, 29, 1
	v_cndmask_b32_e32 v16, v20, v16, vcc
	v_alignbit_b32 v18, v11, v15, 30
	v_sub_u32_e32 v23, 0, v22
	v_cndmask_b32_e64 v12, v12, v16, s[4:5]
	v_xor_b32_e32 v24, v18, v23
	v_cndmask_b32_e64 v12, v13, v12, s[6:7]
	v_alignbit_b32 v13, v17, v12, v19
	v_ffbh_u32_e32 v16, v24
	v_cndmask_b32_e64 v13, v13, v17, s[8:9]
	v_add_u32_e32 v16, 1, v16
	v_cmp_ne_u32_e32 vcc, v18, v23
	v_alignbit_b32 v15, v15, v13, 30
	v_cndmask_b32_e32 v16, 33, v16, vcc
	v_alignbit_b32 v12, v13, v12, 30
	v_xor_b32_e32 v15, v15, v23
	v_sub_u32_e32 v17, 32, v16
	v_xor_b32_e32 v12, v12, v23
	v_alignbit_b32 v18, v24, v15, v17
	v_alignbit_b32 v12, v15, v12, v17
	;; [unrolled: 1-line block ×3, first 2 shown]
	v_ffbh_u32_e32 v15, v13
	v_min_u32_e32 v15, 32, v15
	v_lshrrev_b32_e32 v21, 29, v11
	v_sub_u32_e32 v17, 31, v15
	v_alignbit_b32 v12, v13, v12, v17
	v_lshlrev_b32_e32 v13, 31, v21
	v_or_b32_e32 v17, 0x33800000, v13
	v_add_lshl_u32 v15, v15, v16, 23
	v_lshrrev_b32_e32 v12, 9, v12
	v_sub_u32_e32 v15, v17, v15
	v_or_b32_e32 v12, v15, v12
	v_alignbit_b32 v15, v16, v18, 9
	v_or_b32_e32 v13, v15, v13
	v_xor_b32_e32 v13, 1.0, v13
	s_mov_b32 s4, 0x3fc90fda
	v_mul_f32_e32 v15, 0x3fc90fda, v13
	v_fma_f32 v16, v13, s4, -v15
	v_fmac_f32_e32 v16, 0x33a22168, v13
	v_fmac_f32_e32 v16, 0x3fc90fda, v12
	v_lshrrev_b32_e32 v11, 30, v11
	v_add_f32_e32 v12, v15, v16
	v_add_u32_e32 v11, v22, v11
	s_andn2_saveexec_b64 s[4:5], s[18:19]
	s_cbranch_execnz .LBB13_40
	s_branch .LBB13_41
.LBB13_39:
	s_andn2_saveexec_b64 s[4:5], s[18:19]
.LBB13_40:
	s_mov_b32 s6, 0x3f22f983
	v_mul_f32_e64 v11, |v4|, s6
	v_rndne_f32_e32 v13, v11
	s_mov_b32 s6, 0xbfc90fda
	v_cvt_i32_f32_e32 v11, v13
	v_fma_f32 v12, v13, s6, |v4|
	v_fmac_f32_e32 v12, 0xb3a22168, v13
	v_fmac_f32_e32 v12, 0xa7c234c4, v13
.LBB13_41:
	s_or_b64 exec, exec, s[4:5]
	v_div_scale_f32 v13, s[4:5], v6, v6, 1.0
	v_rcp_f32_e32 v15, v13
	v_div_scale_f32 v16, vcc, 1.0, v6, 1.0
	v_mov_b32_e32 v21, 0xbab64f3b
	v_fma_f32 v17, -v13, v15, 1.0
	v_fmac_f32_e32 v15, v17, v15
	v_mul_f32_e32 v17, v16, v15
	v_fma_f32 v18, -v13, v17, v16
	v_fmac_f32_e32 v17, v18, v15
	v_fma_f32 v13, -v13, v17, v16
	v_div_fmas_f32 v13, v13, v15, v17
	v_div_fixup_f32 v6, v13, v6, 1.0
	v_mul_f32_e32 v13, v6, v6
	v_mov_b32_e32 v15, 0xbe06db67
	v_fmac_f32_e32 v15, 0, v13
	v_mov_b32_e32 v16, 0xbf205f75
	v_fmac_f32_e32 v16, v13, v15
	;; [unrolled: 2-line block ×18, first 2 shown]
	v_mul_f32_e32 v16, v10, v10
	v_mov_b32_e32 v19, 0x3c0881c4
	v_fmac_f32_e32 v21, 0x37d75334, v16
	v_mov_b32_e32 v22, 0x3d2aabf7
	v_fmac_f32_e32 v19, 0xb94c1982, v16
	v_mov_b32_e32 v20, 0xbe2aaa9d
	v_fma_f32 v21, v16, v21, v22
	v_mov_b32_e32 v23, 0xbf000004
	v_fma_f32 v19, v16, v19, v20
	v_fma_f32 v21, v16, v21, v23
	v_mul_f32_e32 v19, v16, v19
	v_fma_f32 v16, v16, v21, 1.0
	v_and_b32_e32 v21, 1, v7
	v_lshlrev_b32_e32 v7, 30, v7
	v_fmac_f32_e32 v10, v10, v19
	v_cmp_eq_u32_e32 vcc, 0, v21
	v_and_b32_e32 v7, 0x80000000, v7
	v_xor_b32_e32 v5, v5, v4
	v_cndmask_b32_e32 v10, v16, v10, vcc
	v_xor_b32_e32 v5, v5, v7
	v_mul_f32_e32 v7, v13, v17
	v_xor_b32_e32 v5, v5, v10
	v_div_scale_f32 v10, s[4:5], v15, v15, v7
	v_rcp_f32_e32 v16, v10
	s_movk_i32 s6, 0x1f8
	v_mov_b32_e32 v17, 0x7fc00000
	v_cmp_class_f32_e64 s[4:5], v4, s6
	v_cndmask_b32_e64 v4, v17, v5, s[4:5]
	v_fma_f32 v5, -v10, v16, 1.0
	v_fmac_f32_e32 v16, v5, v16
	v_div_scale_f32 v5, vcc, v7, v15, v7
	v_mul_f32_e32 v21, v5, v16
	v_fma_f32 v24, -v10, v21, v5
	v_fmac_f32_e32 v21, v24, v16
	v_fma_f32 v5, -v10, v21, v5
	v_div_fmas_f32 v5, v5, v16, v21
	v_div_fixup_f32 v5, v5, v15, v7
	v_mov_b32_e32 v7, 0x3ca1a92f
	v_fmac_f32_e32 v7, 0, v13
	v_mov_b32_e32 v10, 0x3ec83ea8
	v_fmac_f32_e32 v10, v13, v7
	;; [unrolled: 2-line block ×17, first 2 shown]
	v_mov_b32_e32 v10, 0x3b873823
	s_mov_b32 s6, 0xf800000
	v_fmac_f32_e32 v10, v13, v15
	v_mul_f32_e32 v15, 0x4f800000, v3
	v_cmp_gt_f32_e32 vcc, s6, v3
	v_cndmask_b32_e32 v3, v3, v15, vcc
	v_sqrt_f32_e32 v15, v3
	s_mov_b32 s8, 0x3f106ebb
	v_mov_b32_e32 v16, 0x38d45b0f
	v_fmac_f32_e32 v16, v13, v10
	v_add_u32_e32 v21, -1, v15
	v_fma_f32 v24, -v21, v15, v3
	v_cmp_ge_f32_e64 s[6:7], 0, v24
	v_add_u32_e32 v24, 1, v15
	v_cndmask_b32_e64 v21, v15, v21, s[6:7]
	v_fma_f32 v15, -v24, v15, v3
	v_cmp_lt_f32_e64 s[6:7], 0, v15
	v_cndmask_b32_e64 v15, v21, v24, s[6:7]
	v_mul_f32_e32 v21, 0x37800000, v15
	v_cndmask_b32_e32 v15, v15, v21, vcc
	v_mov_b32_e32 v21, 0x260
	v_cmp_class_f32_e32 vcc, v3, v21
	v_cndmask_b32_e32 v3, v15, v3, vcc
	v_div_scale_f32 v15, s[6:7], v3, v3, s8
	v_rcp_f32_e32 v21, v15
	v_mov_b32_e32 v10, 0x359d422f
	v_fmac_f32_e32 v10, v13, v16
	v_mov_b32_e32 v16, 0x31a8fe3a
	v_fmac_f32_e32 v16, v13, v10
	v_fma_f32 v10, -v15, v21, 1.0
	v_fmac_f32_e32 v21, v10, v21
	v_div_scale_f32 v10, vcc, s8, v3, s8
	v_mul_f32_e32 v13, v10, v21
	v_fma_f32 v24, -v15, v13, v10
	v_fmac_f32_e32 v13, v24, v21
	v_fma_f32 v10, -v15, v13, v10
	v_div_fmas_f32 v10, v10, v21, v13
	v_mov_b32_e32 v18, 0x3c0881c4
	v_div_fixup_f32 v3, v10, v3, s8
	v_mul_f32_e32 v10, v12, v12
	v_mov_b32_e32 v19, 0xbab64f3b
	v_fmac_f32_e32 v18, 0xb94c1982, v10
	v_fmac_f32_e32 v20, v10, v18
	;; [unrolled: 1-line block ×3, first 2 shown]
	v_mul_f32_e32 v13, v10, v20
	v_fmac_f32_e32 v22, v10, v19
	v_fmac_f32_e32 v12, v12, v13
	;; [unrolled: 1-line block ×3, first 2 shown]
	v_and_b32_e32 v13, 1, v11
	v_mul_f32_e32 v6, v6, v7
	v_fma_f32 v10, v10, v23, 1.0
	v_cmp_eq_u32_e32 vcc, 0, v13
	v_div_scale_f32 v7, s[6:7], v16, v16, v6
	v_cndmask_b32_e64 v10, -v12, v10, vcc
	v_rcp_f32_e32 v12, v7
	v_lshlrev_b32_e32 v11, 30, v11
	v_and_b32_e32 v11, 0x80000000, v11
	v_xor_b32_e32 v10, v11, v10
	v_fma_f32 v11, -v7, v12, 1.0
	v_fmac_f32_e32 v12, v11, v12
	v_div_scale_f32 v11, vcc, v6, v16, v6
	v_mul_f32_e32 v13, v11, v12
	v_fma_f32 v15, -v7, v13, v11
	v_fmac_f32_e32 v13, v15, v12
	v_fma_f32 v7, -v7, v13, v11
	v_div_fmas_f32 v7, v7, v12, v13
	v_cndmask_b32_e64 v10, v17, v10, s[4:5]
	v_div_fixup_f32 v6, v7, v16, v6
	v_add_f32_e32 v5, 1.0, v5
	v_mul_f32_e32 v6, v6, v10
	v_fma_f32 v4, v5, v4, -v6
	v_mul_f32_e32 v3, v3, v4
.LBB13_42:
	s_or_b64 exec, exec, s[16:17]
.LBB13_43:
	s_or_b64 exec, exec, s[14:15]
.LBB13_44:
	s_or_b64 exec, exec, s[12:13]
	s_mov_b32 s22, 0x7f800000
	v_cmp_neq_f32_e64 s[4:5], |v8|, s22
	v_mov_b32_e32 v5, 0x7fc00000
	v_mov_b32_e32 v4, 0x7fc00000
	s_and_saveexec_b64 s[12:13], s[4:5]
	s_cbranch_execz .LBB13_66
; %bb.45:
	s_mov_b32 s4, 0x42cfc8b4
	v_cmp_nlt_f32_e32 vcc, s4, v8
	v_mov_b32_e32 v4, 0
	s_and_saveexec_b64 s[14:15], vcc
	s_cbranch_execz .LBB13_65
; %bb.46:
	s_mov_b32 s4, 0xc005c28f
	v_cmp_ngt_f32_e32 vcc, s4, v8
	s_and_saveexec_b64 s[4:5], vcc
	s_xor_b64 s[6:7], exec, s[4:5]
	s_cbranch_execz .LBB13_54
; %bb.47:
	s_mov_b32 s4, 0x4005c28f
	v_cmp_nle_f32_e64 s[8:9], s4, v8
	v_cmp_le_f32_e32 vcc, s4, v8
	v_mov_b32_e32 v4, 0
	s_mov_b64 s[4:5], s[8:9]
	s_and_saveexec_b64 s[16:17], vcc
	s_cbranch_execz .LBB13_49
; %bb.48:
	s_mov_b32 s18, 0xf800000
	v_mul_f32_e32 v4, 0x4f800000, v8
	v_cmp_gt_f32_e32 vcc, s18, v8
	v_cndmask_b32_e32 v4, v8, v4, vcc
	v_sqrt_f32_e32 v6, v4
	v_add_f32_e32 v7, v8, v8
	s_mov_b32 s19, 0x40400000
	v_add_u32_e32 v10, -1, v6
	v_fma_f32 v11, -v10, v6, v4
	v_cmp_ge_f32_e64 s[4:5], 0, v11
	v_add_u32_e32 v11, 1, v6
	v_cndmask_b32_e64 v10, v6, v10, s[4:5]
	v_fma_f32 v6, -v11, v6, v4
	v_cmp_lt_f32_e64 s[4:5], 0, v6
	v_cndmask_b32_e64 v6, v10, v11, s[4:5]
	v_mul_f32_e32 v10, 0x37800000, v6
	v_cndmask_b32_e32 v6, v6, v10, vcc
	v_mov_b32_e32 v10, 0x260
	v_cmp_class_f32_e32 vcc, v4, v10
	v_cndmask_b32_e32 v4, v6, v4, vcc
	v_mul_f32_e32 v6, v7, v4
	v_div_scale_f32 v7, s[4:5], s19, s19, v6
	v_rcp_f32_e32 v11, v7
	v_fma_f32 v12, -v7, v11, 1.0
	v_fmac_f32_e32 v11, v12, v11
	v_div_scale_f32 v12, vcc, v6, s19, v6
	v_mul_f32_e32 v13, v12, v11
	v_fma_f32 v15, -v7, v13, v12
	v_fmac_f32_e32 v13, v15, v11
	v_fma_f32 v7, -v7, v13, v12
	v_div_fmas_f32 v7, v7, v11, v13
	v_div_fixup_f32 v11, v7, s19, v6
	v_div_scale_f32 v6, s[4:5], v11, v11, 1.0
	v_rcp_f32_e32 v7, v6
	v_fma_f32 v12, -v6, v7, 1.0
	v_fmac_f32_e32 v7, v12, v7
	v_div_scale_f32 v12, vcc, 1.0, v11, 1.0
	v_mul_f32_e32 v13, v12, v7
	v_fma_f32 v15, -v6, v13, v12
	v_fmac_f32_e32 v13, v15, v7
	v_fma_f32 v6, -v6, v13, v12
	v_div_fmas_f32 v6, v6, v7, v13
	v_div_fixup_f32 v6, v6, v11, 1.0
	v_mov_b32_e32 v7, 0x3eb16d71
	v_fmac_f32_e32 v7, 0, v6
	v_mov_b32_e32 v12, 0x41401f1c
	v_fmac_f32_e32 v12, v6, v7
	;; [unrolled: 2-line block ×14, first 2 shown]
	v_fma_f32 v12, v6, v12, 1.0
	v_fma_f32 v6, v6, v7, 1.0
	v_div_scale_f32 v7, s[4:5], v12, v12, v6
	v_rcp_f32_e32 v13, v7
	v_cmp_gt_f32_e64 s[4:5], s18, v4
	v_fma_f32 v15, -v7, v13, 1.0
	v_fmac_f32_e32 v13, v15, v13
	v_div_scale_f32 v15, vcc, v6, v12, v6
	v_mul_f32_e32 v16, v15, v13
	v_fma_f32 v17, -v7, v16, v15
	v_fmac_f32_e32 v16, v17, v13
	v_fma_f32 v7, -v7, v16, v15
	v_mul_f32_e32 v15, 0x4f800000, v4
	v_cndmask_b32_e64 v4, v4, v15, s[4:5]
	v_sqrt_f32_e32 v15, v4
	v_div_fmas_f32 v7, v7, v13, v16
	v_div_fixup_f32 v6, v7, v12, v6
	v_add_u32_e32 v7, -1, v15
	v_fma_f32 v12, -v7, v15, v4
	v_cmp_ge_f32_e32 vcc, 0, v12
	v_add_u32_e32 v12, 1, v15
	v_fma_f32 v13, -v12, v15, v4
	v_cndmask_b32_e32 v7, v15, v7, vcc
	v_cmp_lt_f32_e32 vcc, 0, v13
	v_cndmask_b32_e32 v7, v7, v12, vcc
	v_mul_f32_e32 v12, 0x37800000, v7
	v_cndmask_b32_e64 v7, v7, v12, s[4:5]
	v_cmp_class_f32_e32 vcc, v4, v10
	v_cndmask_b32_e32 v7, v7, v4, vcc
	s_mov_b32 s4, 0x3fb8aa3b
	v_mul_f32_e32 v4, 0x3fb8aa3b, v11
	v_fma_f32 v10, v11, s4, -v4
	v_rndne_f32_e32 v12, v4
	v_fmac_f32_e32 v10, 0x32a5705f, v11
	v_sub_f32_e32 v4, v4, v12
	v_add_f32_e32 v4, v4, v10
	v_exp_f32_e32 v4, v4
	v_cvt_i32_f32_e32 v10, v12
	s_mov_b32 s4, 0x3f106ebb
	s_mov_b32 s5, 2.0
	v_pk_mul_f32 v[6:7], v[6:7], s[4:5]
	s_mov_b32 s4, 0xc2ce8ed0
	v_ldexp_f32 v4, v4, v10
	v_cmp_ngt_f32_e32 vcc, s4, v11
	s_mov_b32 s4, 0x42b17218
	v_cndmask_b32_e32 v4, 0, v4, vcc
	v_mov_b32_e32 v10, 0x7f800000
	v_cmp_nlt_f32_e32 vcc, s4, v11
	v_cndmask_b32_e32 v4, v10, v4, vcc
	v_mul_f32_e32 v4, v7, v4
	v_div_scale_f32 v7, s[4:5], v4, v4, v6
	v_rcp_f32_e32 v10, v7
	s_mov_b32 s4, 0x41052018
	v_fma_f32 v11, -v7, v10, 1.0
	v_fmac_f32_e32 v10, v11, v10
	v_div_scale_f32 v11, vcc, v6, v4, v6
	v_mul_f32_e32 v12, v11, v10
	v_fma_f32 v13, -v7, v12, v11
	v_fmac_f32_e32 v12, v13, v10
	v_fma_f32 v7, -v7, v12, v11
	v_div_fmas_f32 v7, v7, v10, v12
	v_cmp_nlt_f32_e32 vcc, s4, v8
	s_andn2_b64 s[4:5], s[8:9], exec
	s_and_b64 s[18:19], vcc, exec
	v_div_fixup_f32 v4, v7, v4, v6
	s_or_b64 s[4:5], s[4:5], s[18:19]
.LBB13_49:
	s_or_b64 exec, exec, s[16:17]
	s_and_saveexec_b64 s[16:17], s[4:5]
	s_cbranch_execz .LBB13_53
; %bb.50:
	v_mul_f32_e32 v6, v8, v8
	v_mul_f32_e32 v6, v8, v6
	v_mov_b32_e32 v7, v6
	s_mov_b64 s[18:19], 0
	v_mov_b32_e32 v15, 1.0
	s_brev_b32 s20, 44
	v_mov_b32_e32 v10, 1.0
	v_mov_b32_e32 v11, v8
	v_mov_b32_e32 v12, 1.0
	v_mov_b32_e32 v13, v8
.LBB13_51:                              ; =>This Inner Loop Header: Depth=1
	v_pk_mul_f32 v[12:13], v[6:7], v[12:13]
	v_add_f32_e32 v16, 1.0, v15
	v_add_f32_e32 v17, 1.0, v16
	v_div_scale_f32 v18, s[4:5], v16, v16, v12
	v_rcp_f32_e32 v20, v18
	v_div_scale_f32 v21, s[4:5], v17, v17, v13
	v_rcp_f32_e32 v23, v21
	v_fma_f32 v24, -v18, v20, 1.0
	v_div_scale_f32 v19, vcc, v12, v16, v12
	v_fmac_f32_e32 v20, v24, v20
	v_fma_f32 v24, -v21, v23, 1.0
	v_div_scale_f32 v22, s[4:5], v13, v17, v13
	v_mul_f32_e32 v25, v19, v20
	v_fmac_f32_e32 v23, v24, v23
	v_fma_f32 v24, -v18, v25, v19
	v_mul_f32_e32 v26, v22, v23
	v_fmac_f32_e32 v25, v24, v20
	v_fma_f32 v24, -v21, v26, v22
	v_fma_f32 v18, -v18, v25, v19
	v_fmac_f32_e32 v26, v24, v23
	v_div_fmas_f32 v18, v18, v20, v25
	v_fma_f32 v19, -v21, v26, v22
	s_mov_b64 vcc, s[4:5]
	v_div_fixup_f32 v12, v18, v16, v12
	v_div_fmas_f32 v16, v19, v23, v26
	v_add_f32_e32 v15, 1.0, v17
	v_div_fixup_f32 v13, v16, v17, v13
	v_div_scale_f32 v16, s[4:5], v17, v17, v12
	v_div_scale_f32 v19, s[24:25], v15, v15, v13
	v_rcp_f32_e32 v21, v16
	v_rcp_f32_e32 v22, v19
	v_div_scale_f32 v18, s[4:5], v12, v17, v12
	v_fma_f32 v23, -v16, v21, 1.0
	v_fma_f32 v24, -v19, v22, 1.0
	v_div_scale_f32 v20, vcc, v13, v15, v13
	v_fmac_f32_e32 v21, v23, v21
	v_fmac_f32_e32 v22, v24, v22
	v_mul_f32_e32 v23, v18, v21
	v_mul_f32_e32 v24, v20, v22
	v_fma_f32 v25, -v16, v23, v18
	v_fma_f32 v26, -v19, v24, v20
	v_fmac_f32_e32 v23, v25, v21
	v_fmac_f32_e32 v24, v26, v22
	v_fma_f32 v16, -v16, v23, v18
	v_fma_f32 v18, -v19, v24, v20
	v_div_fmas_f32 v18, v18, v22, v24
	s_mov_b64 vcc, s[4:5]
	v_div_fmas_f32 v16, v16, v21, v23
	v_div_fixup_f32 v13, v18, v15, v13
	v_div_fixup_f32 v12, v16, v17, v12
	v_pk_add_f32 v[10:11], v[10:11], v[12:13]
	v_div_scale_f32 v16, s[4:5], v10, v10, v12
	v_rcp_f32_e32 v17, v16
	v_div_scale_f32 v18, vcc, v12, v10, v12
	v_fma_f32 v19, -v16, v17, 1.0
	v_fmac_f32_e32 v17, v19, v17
	v_mul_f32_e32 v19, v18, v17
	v_fma_f32 v20, -v16, v19, v18
	v_fmac_f32_e32 v19, v20, v17
	v_fma_f32 v16, -v16, v19, v18
	v_div_fmas_f32 v16, v16, v17, v19
	v_div_fixup_f32 v16, v16, v10, v12
	v_cmp_ngt_f32_e64 s[4:5], |v16|, s20
	s_or_b64 s[18:19], s[4:5], s[18:19]
	s_andn2_b64 exec, exec, s[18:19]
	s_cbranch_execnz .LBB13_51
; %bb.52:
	s_or_b64 exec, exec, s[18:19]
	s_mov_b32 s4, 0x3eb5c63d
	s_mov_b32 s5, 0x3e8483fa
	v_pk_mul_f32 v[6:7], v[10:11], s[4:5]
	v_sub_f32_e32 v6, v6, v7
	v_cndmask_b32_e64 v4, v4, v6, s[8:9]
.LBB13_53:
	s_or_b64 exec, exec, s[16:17]
.LBB13_54:
	s_andn2_saveexec_b64 s[16:17], s[6:7]
	s_cbranch_execz .LBB13_64
; %bb.55:
	s_mov_b32 s4, 0x8f800000
	v_mul_f32_e32 v4, 0xcf800000, v8
	v_cmp_lt_f32_e32 vcc, s4, v8
	v_cndmask_b32_e64 v4, -v8, v4, vcc
	v_sqrt_f32_e32 v6, v4
	v_mul_f32_e32 v7, -2.0, v8
	s_mov_b32 s6, 0x40400000
	v_add_u32_e32 v8, -1, v6
	v_fma_f32 v10, -v8, v6, v4
	v_cmp_ge_f32_e64 s[4:5], 0, v10
	v_add_u32_e32 v10, 1, v6
	v_cndmask_b32_e64 v8, v6, v8, s[4:5]
	v_fma_f32 v6, -v10, v6, v4
	v_cmp_lt_f32_e64 s[4:5], 0, v6
	v_cndmask_b32_e64 v6, v8, v10, s[4:5]
	v_mul_f32_e32 v8, 0x37800000, v6
	v_cndmask_b32_e32 v6, v6, v8, vcc
	v_mov_b32_e32 v8, 0x260
	v_cmp_class_f32_e32 vcc, v4, v8
	v_cndmask_b32_e32 v4, v6, v4, vcc
	v_mul_f32_e32 v6, v7, v4
	v_div_scale_f32 v7, s[4:5], s6, s6, v6
	v_rcp_f32_e32 v8, v7
	s_brev_b32 s4, 18
	v_fma_f32 v10, -v7, v8, 1.0
	v_fmac_f32_e32 v8, v10, v8
	v_div_scale_f32 v10, vcc, v6, s6, v6
	v_mul_f32_e32 v11, v10, v8
	v_fma_f32 v12, -v7, v11, v10
	v_fmac_f32_e32 v11, v12, v8
	v_fma_f32 v7, -v7, v11, v10
	v_div_fmas_f32 v7, v7, v8, v11
	v_div_fixup_f32 v8, v7, s6, v6
	v_add_f32_e32 v6, 0x3f490fdb, v8
	v_and_b32_e32 v7, 0x7fffffff, v6
	v_cmp_nlt_f32_e64 s[18:19], |v6|, s4
	v_lshrrev_b32_e32 v15, 23, v7
                                        ; implicit-def: $vgpr10
                                        ; implicit-def: $vgpr11
	s_and_saveexec_b64 s[4:5], s[18:19]
	s_xor_b64 s[20:21], exec, s[4:5]
	s_cbranch_execz .LBB13_57
; %bb.56:
	v_add_u32_e32 v10, 0xffffff88, v15
	v_not_b32_e32 v12, 63
	v_cmp_lt_u32_e32 vcc, 63, v10
	v_cndmask_b32_e32 v12, 0, v12, vcc
	v_add_u32_e32 v10, v12, v10
	v_not_b32_e32 v12, 31
	v_cmp_lt_u32_e64 s[4:5], 31, v10
	v_cndmask_b32_e64 v13, 0, v12, s[4:5]
	v_add_u32_e32 v10, v13, v10
	v_cmp_lt_u32_e64 s[6:7], 31, v10
	v_cndmask_b32_e64 v12, 0, v12, s[6:7]
	v_add_u32_e32 v26, v12, v10
	v_and_b32_e32 v10, 0x7fffff, v7
	v_or_b32_e32 v27, 0x800000, v10
	s_mov_b32 s8, 0xfe5163ab
	v_mad_u64_u32 v[12:13], s[8:9], v27, s8, 0
	v_mov_b32_e32 v11, 0
	v_mov_b32_e32 v10, v13
	s_mov_b32 s8, 0x3c439041
	v_mad_u64_u32 v[16:17], s[8:9], v27, s8, v[10:11]
	v_mov_b32_e32 v10, v17
	s_mov_b32 s8, 0xdb629599
	v_mad_u64_u32 v[18:19], s[8:9], v27, s8, v[10:11]
	;; [unrolled: 3-line block ×6, first 2 shown]
	v_cndmask_b32_e32 v13, v24, v20, vcc
	v_cndmask_b32_e32 v10, v10, v22, vcc
	;; [unrolled: 1-line block ×3, first 2 shown]
	v_cndmask_b32_e64 v17, v10, v13, s[4:5]
	v_cndmask_b32_e64 v10, v11, v10, s[4:5]
	v_cndmask_b32_e32 v11, v22, v18, vcc
	v_cndmask_b32_e64 v13, v13, v11, s[4:5]
	v_cndmask_b32_e32 v16, v20, v16, vcc
	v_cndmask_b32_e64 v10, v10, v17, s[6:7]
	v_cndmask_b32_e64 v17, v17, v13, s[6:7]
	v_sub_u32_e32 v19, 32, v26
	v_cndmask_b32_e64 v11, v11, v16, s[4:5]
	v_alignbit_b32 v21, v10, v17, v19
	v_cmp_eq_u32_e64 s[8:9], 0, v26
	v_cndmask_b32_e64 v13, v13, v11, s[6:7]
	v_cndmask_b32_e64 v10, v21, v10, s[8:9]
	v_alignbit_b32 v20, v17, v13, v19
	v_cndmask_b32_e64 v17, v20, v17, s[8:9]
	v_bfe_u32 v22, v10, 29, 1
	v_cndmask_b32_e32 v12, v18, v12, vcc
	v_alignbit_b32 v20, v10, v17, 30
	v_sub_u32_e32 v23, 0, v22
	v_cndmask_b32_e64 v12, v16, v12, s[4:5]
	v_xor_b32_e32 v24, v20, v23
	v_cndmask_b32_e64 v11, v11, v12, s[6:7]
	v_alignbit_b32 v12, v13, v11, v19
	v_ffbh_u32_e32 v16, v24
	v_cndmask_b32_e64 v12, v12, v13, s[8:9]
	v_add_u32_e32 v16, 1, v16
	v_cmp_ne_u32_e32 vcc, v20, v23
	v_alignbit_b32 v13, v17, v12, 30
	v_cndmask_b32_e32 v16, 33, v16, vcc
	v_alignbit_b32 v11, v12, v11, 30
	v_xor_b32_e32 v13, v13, v23
	v_sub_u32_e32 v17, 32, v16
	v_xor_b32_e32 v11, v11, v23
	v_alignbit_b32 v18, v24, v13, v17
	v_alignbit_b32 v11, v13, v11, v17
	;; [unrolled: 1-line block ×3, first 2 shown]
	v_ffbh_u32_e32 v13, v12
	v_min_u32_e32 v13, 32, v13
	v_lshrrev_b32_e32 v21, 29, v10
	v_sub_u32_e32 v17, 31, v13
	v_alignbit_b32 v11, v12, v11, v17
	v_lshlrev_b32_e32 v12, 31, v21
	v_or_b32_e32 v17, 0x33800000, v12
	v_add_lshl_u32 v13, v13, v16, 23
	v_lshrrev_b32_e32 v11, 9, v11
	v_sub_u32_e32 v13, v17, v13
	v_or_b32_e32 v11, v13, v11
	v_alignbit_b32 v13, v16, v18, 9
	v_or_b32_e32 v12, v13, v12
	v_xor_b32_e32 v12, 1.0, v12
	s_mov_b32 s4, 0x3fc90fda
	v_mul_f32_e32 v13, 0x3fc90fda, v12
	v_fma_f32 v16, v12, s4, -v13
	v_fmac_f32_e32 v16, 0x33a22168, v12
	v_fmac_f32_e32 v16, 0x3fc90fda, v11
	v_lshrrev_b32_e32 v10, 30, v10
	v_add_f32_e32 v11, v13, v16
	v_add_u32_e32 v10, v22, v10
	s_andn2_saveexec_b64 s[4:5], s[20:21]
	s_branch .LBB13_58
.LBB13_57:
	s_andn2_saveexec_b64 s[4:5], s[20:21]
.LBB13_58:
	s_mov_b32 s6, 0x3f22f983
	v_mul_f32_e64 v10, |v6|, s6
	v_rndne_f32_e32 v12, v10
	s_mov_b32 s6, 0xbfc90fda
	v_cvt_i32_f32_e32 v10, v12
	v_fma_f32 v11, v12, s6, |v6|
	v_fmac_f32_e32 v11, 0xb3a22168, v12
	v_fmac_f32_e32 v11, 0xa7c234c4, v12
; %bb.59:
	s_or_b64 exec, exec, s[4:5]
                                        ; implicit-def: $vgpr12
                                        ; implicit-def: $vgpr13
	s_and_saveexec_b64 s[4:5], s[18:19]
	s_xor_b64 s[18:19], exec, s[4:5]
	s_cbranch_execz .LBB13_61
; %bb.60:
	v_add_u32_e32 v12, 0xffffff88, v15
	v_not_b32_e32 v15, 63
	v_cmp_lt_u32_e32 vcc, 63, v12
	v_cndmask_b32_e32 v15, 0, v15, vcc
	v_add_u32_e32 v12, v15, v12
	v_not_b32_e32 v15, 31
	v_cmp_lt_u32_e64 s[4:5], 31, v12
	v_cndmask_b32_e64 v16, 0, v15, s[4:5]
	v_add_u32_e32 v12, v16, v12
	v_cmp_lt_u32_e64 s[6:7], 31, v12
	v_cndmask_b32_e64 v15, 0, v15, s[6:7]
	v_add_u32_e32 v15, v15, v12
	v_and_b32_e32 v12, 0x7fffff, v7
	v_or_b32_e32 v28, 0x800000, v12
	s_mov_b32 s8, 0xfe5163ab
	v_mad_u64_u32 v[16:17], s[8:9], v28, s8, 0
	v_mov_b32_e32 v13, 0
	v_mov_b32_e32 v12, v17
	s_mov_b32 s8, 0x3c439041
	v_mad_u64_u32 v[18:19], s[8:9], v28, s8, v[12:13]
	v_mov_b32_e32 v12, v19
	s_mov_b32 s8, 0xdb629599
	v_mad_u64_u32 v[20:21], s[8:9], v28, s8, v[12:13]
	v_mov_b32_e32 v12, v21
	s_mov_b32 s8, 0xf534ddc0
	v_mad_u64_u32 v[22:23], s[8:9], v28, s8, v[12:13]
	v_mov_b32_e32 v12, v23
	s_mov_b32 s8, 0xfc2757d1
	v_mad_u64_u32 v[24:25], s[8:9], v28, s8, v[12:13]
	v_mov_b32_e32 v12, v25
	s_mov_b32 s8, 0x4e441529
	v_mad_u64_u32 v[26:27], s[8:9], v28, s8, v[12:13]
	v_mov_b32_e32 v12, v27
	s_mov_b32 s8, 0xa2f9836e
	v_mad_u64_u32 v[12:13], s[8:9], v28, s8, v[12:13]
	v_cndmask_b32_e32 v17, v26, v22, vcc
	v_cndmask_b32_e32 v12, v12, v24, vcc
	;; [unrolled: 1-line block ×3, first 2 shown]
	v_cndmask_b32_e64 v19, v12, v17, s[4:5]
	v_cndmask_b32_e64 v12, v13, v12, s[4:5]
	v_cndmask_b32_e32 v13, v24, v20, vcc
	v_cndmask_b32_e64 v17, v17, v13, s[4:5]
	v_sub_u32_e32 v21, 32, v15
	v_cmp_eq_u32_e64 s[8:9], 0, v15
	v_cndmask_b32_e32 v15, v22, v18, vcc
	v_cndmask_b32_e64 v12, v12, v19, s[6:7]
	v_cndmask_b32_e64 v19, v19, v17, s[6:7]
	;; [unrolled: 1-line block ×3, first 2 shown]
	v_alignbit_b32 v23, v12, v19, v21
	v_cndmask_b32_e64 v17, v17, v13, s[6:7]
	v_cndmask_b32_e64 v12, v23, v12, s[8:9]
	v_alignbit_b32 v18, v19, v17, v21
	v_cndmask_b32_e32 v16, v20, v16, vcc
	v_cndmask_b32_e64 v18, v18, v19, s[8:9]
	v_bfe_u32 v23, v12, 29, 1
	v_cndmask_b32_e64 v15, v15, v16, s[4:5]
	v_alignbit_b32 v19, v12, v18, 30
	v_sub_u32_e32 v24, 0, v23
	v_cndmask_b32_e64 v13, v13, v15, s[6:7]
	v_xor_b32_e32 v25, v19, v24
	v_alignbit_b32 v15, v17, v13, v21
	v_cndmask_b32_e64 v15, v15, v17, s[8:9]
	v_ffbh_u32_e32 v17, v25
	v_add_u32_e32 v17, 1, v17
	v_cmp_ne_u32_e32 vcc, v19, v24
	v_alignbit_b32 v16, v18, v15, 30
	v_cndmask_b32_e32 v17, 33, v17, vcc
	v_alignbit_b32 v13, v15, v13, 30
	v_xor_b32_e32 v16, v16, v24
	v_sub_u32_e32 v18, 32, v17
	v_xor_b32_e32 v13, v13, v24
	v_alignbit_b32 v19, v25, v16, v18
	v_alignbit_b32 v13, v16, v13, v18
	v_alignbit_b32 v15, v19, v13, 9
	v_ffbh_u32_e32 v16, v15
	v_min_u32_e32 v16, 32, v16
	v_lshrrev_b32_e32 v22, 29, v12
	v_sub_u32_e32 v18, 31, v16
	v_alignbit_b32 v13, v15, v13, v18
	v_lshlrev_b32_e32 v15, 31, v22
	v_or_b32_e32 v18, 0x33800000, v15
	v_add_lshl_u32 v16, v16, v17, 23
	v_lshrrev_b32_e32 v13, 9, v13
	v_sub_u32_e32 v16, v18, v16
	v_or_b32_e32 v13, v16, v13
	v_alignbit_b32 v16, v17, v19, 9
	v_or_b32_e32 v15, v16, v15
	v_xor_b32_e32 v15, 1.0, v15
	s_mov_b32 s4, 0x3fc90fda
	v_mul_f32_e32 v16, 0x3fc90fda, v15
	v_fma_f32 v17, v15, s4, -v16
	v_fmac_f32_e32 v17, 0x33a22168, v15
	v_fmac_f32_e32 v17, 0x3fc90fda, v13
	v_lshrrev_b32_e32 v12, 30, v12
	v_add_f32_e32 v13, v16, v17
	v_add_u32_e32 v12, v23, v12
	s_andn2_saveexec_b64 s[4:5], s[18:19]
	s_cbranch_execnz .LBB13_62
	s_branch .LBB13_63
.LBB13_61:
	s_andn2_saveexec_b64 s[4:5], s[18:19]
.LBB13_62:
	s_mov_b32 s6, 0x3f22f983
	v_mul_f32_e64 v12, |v6|, s6
	v_rndne_f32_e32 v15, v12
	s_mov_b32 s6, 0xbfc90fda
	v_cvt_i32_f32_e32 v12, v15
	v_fma_f32 v13, v15, s6, |v6|
	v_fmac_f32_e32 v13, 0xb3a22168, v15
	v_fmac_f32_e32 v13, 0xa7c234c4, v15
.LBB13_63:
	s_or_b64 exec, exec, s[4:5]
	v_div_scale_f32 v15, s[4:5], v8, v8, 1.0
	v_rcp_f32_e32 v16, v15
	v_div_scale_f32 v17, vcc, 1.0, v8, 1.0
	v_mov_b32_e32 v22, 0xbab64f3b
	v_fma_f32 v18, -v15, v16, 1.0
	v_fmac_f32_e32 v16, v18, v16
	v_mul_f32_e32 v18, v17, v16
	v_fma_f32 v19, -v15, v18, v17
	v_fmac_f32_e32 v18, v19, v16
	v_fma_f32 v15, -v15, v18, v17
	v_div_fmas_f32 v15, v15, v16, v18
	v_div_fixup_f32 v8, v15, v8, 1.0
	v_mul_f32_e32 v15, v8, v8
	v_mov_b32_e32 v16, 0xbe06db67
	v_fmac_f32_e32 v16, 0, v15
	v_mov_b32_e32 v17, 0xbf205f75
	v_fmac_f32_e32 v17, v15, v16
	;; [unrolled: 2-line block ×18, first 2 shown]
	v_mul_f32_e32 v17, v11, v11
	v_mov_b32_e32 v20, 0x3c0881c4
	v_fmac_f32_e32 v22, 0x37d75334, v17
	v_mov_b32_e32 v23, 0x3d2aabf7
	v_fmac_f32_e32 v20, 0xb94c1982, v17
	v_mov_b32_e32 v21, 0xbe2aaa9d
	v_fma_f32 v22, v17, v22, v23
	v_mov_b32_e32 v24, 0xbf000004
	v_fma_f32 v20, v17, v20, v21
	v_fma_f32 v22, v17, v22, v24
	v_mul_f32_e32 v20, v17, v20
	v_fma_f32 v17, v17, v22, 1.0
	v_and_b32_e32 v22, 1, v10
	v_lshlrev_b32_e32 v10, 30, v10
	v_fmac_f32_e32 v11, v11, v20
	v_cmp_eq_u32_e32 vcc, 0, v22
	v_and_b32_e32 v10, 0x80000000, v10
	v_xor_b32_e32 v7, v7, v6
	v_cndmask_b32_e32 v11, v17, v11, vcc
	v_xor_b32_e32 v7, v7, v10
	v_mul_f32_e32 v10, v15, v18
	v_xor_b32_e32 v7, v7, v11
	v_div_scale_f32 v11, s[4:5], v16, v16, v10
	v_rcp_f32_e32 v17, v11
	s_movk_i32 s6, 0x1f8
	v_mov_b32_e32 v18, 0x7fc00000
	v_cmp_class_f32_e64 s[4:5], v6, s6
	v_cndmask_b32_e64 v6, v18, v7, s[4:5]
	v_fma_f32 v7, -v11, v17, 1.0
	v_fmac_f32_e32 v17, v7, v17
	v_div_scale_f32 v7, vcc, v10, v16, v10
	v_mul_f32_e32 v22, v7, v17
	v_fma_f32 v25, -v11, v22, v7
	v_fmac_f32_e32 v22, v25, v17
	v_fma_f32 v7, -v11, v22, v7
	v_div_fmas_f32 v7, v7, v17, v22
	v_div_fixup_f32 v7, v7, v16, v10
	v_mov_b32_e32 v10, 0x3ca1a92f
	v_fmac_f32_e32 v10, 0, v15
	v_mov_b32_e32 v11, 0x3ec83ea8
	v_fmac_f32_e32 v11, v15, v10
	;; [unrolled: 2-line block ×17, first 2 shown]
	v_mov_b32_e32 v11, 0x3b873823
	s_mov_b32 s6, 0xf800000
	v_fmac_f32_e32 v11, v15, v16
	v_mul_f32_e32 v16, 0x4f800000, v4
	v_cmp_gt_f32_e32 vcc, s6, v4
	v_cndmask_b32_e32 v4, v4, v16, vcc
	v_sqrt_f32_e32 v16, v4
	s_mov_b32 s8, 0x3f106ebb
	v_mov_b32_e32 v17, 0x38d45b0f
	v_fmac_f32_e32 v17, v15, v11
	v_add_u32_e32 v22, -1, v16
	v_fma_f32 v25, -v22, v16, v4
	v_cmp_ge_f32_e64 s[6:7], 0, v25
	v_add_u32_e32 v25, 1, v16
	v_cndmask_b32_e64 v22, v16, v22, s[6:7]
	v_fma_f32 v16, -v25, v16, v4
	v_cmp_lt_f32_e64 s[6:7], 0, v16
	v_cndmask_b32_e64 v16, v22, v25, s[6:7]
	v_mul_f32_e32 v22, 0x37800000, v16
	v_cndmask_b32_e32 v16, v16, v22, vcc
	v_mov_b32_e32 v22, 0x260
	v_cmp_class_f32_e32 vcc, v4, v22
	v_cndmask_b32_e32 v4, v16, v4, vcc
	v_div_scale_f32 v16, s[6:7], v4, v4, s8
	v_rcp_f32_e32 v22, v16
	v_mov_b32_e32 v11, 0x359d422f
	v_fmac_f32_e32 v11, v15, v17
	v_mov_b32_e32 v17, 0x31a8fe3a
	v_fmac_f32_e32 v17, v15, v11
	v_fma_f32 v11, -v16, v22, 1.0
	v_fmac_f32_e32 v22, v11, v22
	v_div_scale_f32 v11, vcc, s8, v4, s8
	v_mul_f32_e32 v15, v11, v22
	v_fma_f32 v25, -v16, v15, v11
	v_fmac_f32_e32 v15, v25, v22
	v_fma_f32 v11, -v16, v15, v11
	v_div_fmas_f32 v11, v11, v22, v15
	v_mov_b32_e32 v19, 0x3c0881c4
	v_div_fixup_f32 v4, v11, v4, s8
	v_mul_f32_e32 v11, v13, v13
	v_mov_b32_e32 v20, 0xbab64f3b
	v_fmac_f32_e32 v19, 0xb94c1982, v11
	v_fmac_f32_e32 v21, v11, v19
	;; [unrolled: 1-line block ×3, first 2 shown]
	v_mul_f32_e32 v15, v11, v21
	v_fmac_f32_e32 v23, v11, v20
	v_fmac_f32_e32 v13, v13, v15
	v_fmac_f32_e32 v24, v11, v23
	v_and_b32_e32 v15, 1, v12
	v_mul_f32_e32 v8, v8, v10
	v_fma_f32 v11, v11, v24, 1.0
	v_cmp_eq_u32_e32 vcc, 0, v15
	v_div_scale_f32 v10, s[6:7], v17, v17, v8
	v_cndmask_b32_e64 v11, -v13, v11, vcc
	v_rcp_f32_e32 v13, v10
	v_lshlrev_b32_e32 v12, 30, v12
	v_and_b32_e32 v12, 0x80000000, v12
	v_xor_b32_e32 v11, v12, v11
	v_fma_f32 v12, -v10, v13, 1.0
	v_fmac_f32_e32 v13, v12, v13
	v_div_scale_f32 v12, vcc, v8, v17, v8
	v_mul_f32_e32 v15, v12, v13
	v_fma_f32 v16, -v10, v15, v12
	v_fmac_f32_e32 v15, v16, v13
	v_fma_f32 v10, -v10, v15, v12
	v_div_fmas_f32 v10, v10, v13, v15
	v_cndmask_b32_e64 v11, v18, v11, s[4:5]
	v_div_fixup_f32 v8, v10, v17, v8
	v_add_f32_e32 v7, 1.0, v7
	v_mul_f32_e32 v8, v8, v11
	v_fma_f32 v6, v7, v6, -v8
	v_mul_f32_e32 v4, v4, v6
.LBB13_64:
	s_or_b64 exec, exec, s[16:17]
.LBB13_65:
	s_or_b64 exec, exec, s[14:15]
.LBB13_66:
	s_or_b64 exec, exec, s[12:13]
	v_cmp_neq_f32_e64 s[4:5], |v9|, s22
	s_and_saveexec_b64 s[12:13], s[4:5]
	s_cbranch_execz .LBB13_88
; %bb.67:
	s_mov_b32 s4, 0x42cfc8b4
	v_cmp_nlt_f32_e32 vcc, s4, v9
	v_mov_b32_e32 v5, 0
	s_and_saveexec_b64 s[14:15], vcc
	s_cbranch_execz .LBB13_87
; %bb.68:
	s_mov_b32 s4, 0xc005c28f
	v_cmp_ngt_f32_e32 vcc, s4, v9
	s_and_saveexec_b64 s[4:5], vcc
	s_xor_b64 s[6:7], exec, s[4:5]
	s_cbranch_execz .LBB13_76
; %bb.69:
	s_mov_b32 s4, 0x4005c28f
	v_cmp_nle_f32_e64 s[8:9], s4, v9
	v_cmp_le_f32_e32 vcc, s4, v9
	v_mov_b32_e32 v5, 0
	s_mov_b64 s[4:5], s[8:9]
	s_and_saveexec_b64 s[16:17], vcc
	s_cbranch_execz .LBB13_71
; %bb.70:
	s_mov_b32 s18, 0xf800000
	v_mul_f32_e32 v5, 0x4f800000, v9
	v_cmp_gt_f32_e32 vcc, s18, v9
	v_cndmask_b32_e32 v5, v9, v5, vcc
	v_sqrt_f32_e32 v6, v5
	v_add_f32_e32 v7, v9, v9
	s_mov_b32 s19, 0x40400000
	v_add_u32_e32 v8, -1, v6
	v_fma_f32 v10, -v8, v6, v5
	v_cmp_ge_f32_e64 s[4:5], 0, v10
	v_add_u32_e32 v10, 1, v6
	v_cndmask_b32_e64 v8, v6, v8, s[4:5]
	v_fma_f32 v6, -v10, v6, v5
	v_cmp_lt_f32_e64 s[4:5], 0, v6
	v_cndmask_b32_e64 v6, v8, v10, s[4:5]
	v_mul_f32_e32 v8, 0x37800000, v6
	v_cndmask_b32_e32 v6, v6, v8, vcc
	v_mov_b32_e32 v8, 0x260
	v_cmp_class_f32_e32 vcc, v5, v8
	v_cndmask_b32_e32 v5, v6, v5, vcc
	v_mul_f32_e32 v6, v7, v5
	v_div_scale_f32 v7, s[4:5], s19, s19, v6
	v_rcp_f32_e32 v10, v7
	v_fma_f32 v11, -v7, v10, 1.0
	v_fmac_f32_e32 v10, v11, v10
	v_div_scale_f32 v11, vcc, v6, s19, v6
	v_mul_f32_e32 v12, v11, v10
	v_fma_f32 v13, -v7, v12, v11
	v_fmac_f32_e32 v12, v13, v10
	v_fma_f32 v7, -v7, v12, v11
	v_div_fmas_f32 v7, v7, v10, v12
	v_div_fixup_f32 v10, v7, s19, v6
	v_div_scale_f32 v6, s[4:5], v10, v10, 1.0
	v_rcp_f32_e32 v7, v6
	v_fma_f32 v11, -v6, v7, 1.0
	v_fmac_f32_e32 v7, v11, v7
	v_div_scale_f32 v11, vcc, 1.0, v10, 1.0
	v_mul_f32_e32 v12, v11, v7
	v_fma_f32 v13, -v6, v12, v11
	v_fmac_f32_e32 v12, v13, v7
	v_fma_f32 v6, -v6, v12, v11
	v_div_fmas_f32 v6, v6, v7, v12
	v_div_fixup_f32 v6, v6, v10, 1.0
	v_mov_b32_e32 v7, 0x3eb16d71
	v_fmac_f32_e32 v7, 0, v6
	v_mov_b32_e32 v11, 0x41401f1c
	v_fmac_f32_e32 v11, v6, v7
	;; [unrolled: 2-line block ×14, first 2 shown]
	v_fma_f32 v11, v6, v11, 1.0
	v_fma_f32 v6, v6, v7, 1.0
	v_div_scale_f32 v7, s[4:5], v11, v11, v6
	v_rcp_f32_e32 v12, v7
	v_cmp_gt_f32_e64 s[4:5], s18, v5
	v_fma_f32 v13, -v7, v12, 1.0
	v_fmac_f32_e32 v12, v13, v12
	v_div_scale_f32 v13, vcc, v6, v11, v6
	v_mul_f32_e32 v15, v13, v12
	v_fma_f32 v16, -v7, v15, v13
	v_fmac_f32_e32 v15, v16, v12
	v_fma_f32 v7, -v7, v15, v13
	v_mul_f32_e32 v13, 0x4f800000, v5
	v_cndmask_b32_e64 v5, v5, v13, s[4:5]
	v_sqrt_f32_e32 v13, v5
	v_div_fmas_f32 v7, v7, v12, v15
	v_div_fixup_f32 v6, v7, v11, v6
	v_add_u32_e32 v7, -1, v13
	v_fma_f32 v11, -v7, v13, v5
	v_cmp_ge_f32_e32 vcc, 0, v11
	v_add_u32_e32 v11, 1, v13
	v_fma_f32 v12, -v11, v13, v5
	v_cndmask_b32_e32 v7, v13, v7, vcc
	v_cmp_lt_f32_e32 vcc, 0, v12
	v_cndmask_b32_e32 v7, v7, v11, vcc
	v_mul_f32_e32 v11, 0x37800000, v7
	v_cndmask_b32_e64 v7, v7, v11, s[4:5]
	v_cmp_class_f32_e32 vcc, v5, v8
	v_cndmask_b32_e32 v7, v7, v5, vcc
	s_mov_b32 s4, 0x3fb8aa3b
	v_mul_f32_e32 v5, 0x3fb8aa3b, v10
	v_fma_f32 v8, v10, s4, -v5
	v_rndne_f32_e32 v11, v5
	v_fmac_f32_e32 v8, 0x32a5705f, v10
	v_sub_f32_e32 v5, v5, v11
	v_add_f32_e32 v5, v5, v8
	v_exp_f32_e32 v5, v5
	v_cvt_i32_f32_e32 v8, v11
	s_mov_b32 s4, 0x3f106ebb
	s_mov_b32 s5, 2.0
	v_pk_mul_f32 v[6:7], v[6:7], s[4:5]
	s_mov_b32 s4, 0xc2ce8ed0
	v_ldexp_f32 v5, v5, v8
	v_cmp_ngt_f32_e32 vcc, s4, v10
	s_mov_b32 s4, 0x42b17218
	v_cndmask_b32_e32 v5, 0, v5, vcc
	v_mov_b32_e32 v8, 0x7f800000
	v_cmp_nlt_f32_e32 vcc, s4, v10
	v_cndmask_b32_e32 v5, v8, v5, vcc
	v_mul_f32_e32 v5, v7, v5
	v_div_scale_f32 v7, s[4:5], v5, v5, v6
	v_rcp_f32_e32 v8, v7
	s_mov_b32 s4, 0x41052018
	v_fma_f32 v10, -v7, v8, 1.0
	v_fmac_f32_e32 v8, v10, v8
	v_div_scale_f32 v10, vcc, v6, v5, v6
	v_mul_f32_e32 v11, v10, v8
	v_fma_f32 v12, -v7, v11, v10
	v_fmac_f32_e32 v11, v12, v8
	v_fma_f32 v7, -v7, v11, v10
	v_div_fmas_f32 v7, v7, v8, v11
	v_cmp_nlt_f32_e32 vcc, s4, v9
	s_andn2_b64 s[4:5], s[8:9], exec
	s_and_b64 s[18:19], vcc, exec
	v_div_fixup_f32 v5, v7, v5, v6
	s_or_b64 s[4:5], s[4:5], s[18:19]
.LBB13_71:
	s_or_b64 exec, exec, s[16:17]
	s_and_saveexec_b64 s[16:17], s[4:5]
	s_cbranch_execz .LBB13_75
; %bb.72:
	v_mul_f32_e32 v6, v9, v9
	v_mul_f32_e32 v6, v9, v6
	v_mov_b32_e32 v12, 1.0
	v_mov_b32_e32 v7, v6
	s_mov_b64 s[18:19], 0
	s_brev_b32 s20, 44
	v_mov_b32_e32 v8, v12
	v_mov_b32_e32 v10, 1.0
	v_mov_b32_e32 v11, v9
.LBB13_73:                              ; =>This Inner Loop Header: Depth=1
	v_pk_mul_f32 v[10:11], v[6:7], v[10:11]
	v_add_f32_e32 v13, 1.0, v12
	v_add_f32_e32 v15, 1.0, v13
	v_div_scale_f32 v16, s[4:5], v13, v13, v10
	v_rcp_f32_e32 v18, v16
	v_div_scale_f32 v19, s[4:5], v15, v15, v11
	v_rcp_f32_e32 v21, v19
	v_fma_f32 v22, -v16, v18, 1.0
	v_div_scale_f32 v17, vcc, v10, v13, v10
	v_fmac_f32_e32 v18, v22, v18
	v_fma_f32 v22, -v19, v21, 1.0
	v_div_scale_f32 v20, s[4:5], v11, v15, v11
	v_mul_f32_e32 v23, v17, v18
	v_fmac_f32_e32 v21, v22, v21
	v_fma_f32 v22, -v16, v23, v17
	v_mul_f32_e32 v24, v20, v21
	v_fmac_f32_e32 v23, v22, v18
	v_fma_f32 v22, -v19, v24, v20
	v_fma_f32 v16, -v16, v23, v17
	v_fmac_f32_e32 v24, v22, v21
	v_div_fmas_f32 v16, v16, v18, v23
	v_fma_f32 v17, -v19, v24, v20
	s_mov_b64 vcc, s[4:5]
	v_div_fixup_f32 v10, v16, v13, v10
	v_div_fmas_f32 v13, v17, v21, v24
	v_add_f32_e32 v12, 1.0, v15
	v_div_fixup_f32 v11, v13, v15, v11
	v_div_scale_f32 v13, s[4:5], v15, v15, v10
	v_div_scale_f32 v17, s[22:23], v12, v12, v11
	v_rcp_f32_e32 v19, v13
	v_rcp_f32_e32 v20, v17
	v_div_scale_f32 v16, s[4:5], v10, v15, v10
	v_fma_f32 v21, -v13, v19, 1.0
	v_fma_f32 v22, -v17, v20, 1.0
	v_div_scale_f32 v18, vcc, v11, v12, v11
	v_fmac_f32_e32 v19, v21, v19
	v_fmac_f32_e32 v20, v22, v20
	v_mul_f32_e32 v21, v16, v19
	v_mul_f32_e32 v22, v18, v20
	v_fma_f32 v23, -v13, v21, v16
	v_fma_f32 v24, -v17, v22, v18
	v_fmac_f32_e32 v21, v23, v19
	v_fmac_f32_e32 v22, v24, v20
	v_fma_f32 v13, -v13, v21, v16
	v_fma_f32 v16, -v17, v22, v18
	v_div_fmas_f32 v16, v16, v20, v22
	s_mov_b64 vcc, s[4:5]
	v_div_fmas_f32 v13, v13, v19, v21
	v_div_fixup_f32 v11, v16, v12, v11
	v_div_fixup_f32 v10, v13, v15, v10
	v_pk_add_f32 v[8:9], v[8:9], v[10:11]
	v_div_scale_f32 v13, s[4:5], v8, v8, v10
	v_rcp_f32_e32 v15, v13
	v_div_scale_f32 v16, vcc, v10, v8, v10
	v_fma_f32 v17, -v13, v15, 1.0
	v_fmac_f32_e32 v15, v17, v15
	v_mul_f32_e32 v17, v16, v15
	v_fma_f32 v18, -v13, v17, v16
	v_fmac_f32_e32 v17, v18, v15
	v_fma_f32 v13, -v13, v17, v16
	v_div_fmas_f32 v13, v13, v15, v17
	v_div_fixup_f32 v13, v13, v8, v10
	v_cmp_ngt_f32_e64 s[4:5], |v13|, s20
	s_or_b64 s[18:19], s[4:5], s[18:19]
	s_andn2_b64 exec, exec, s[18:19]
	s_cbranch_execnz .LBB13_73
; %bb.74:
	s_or_b64 exec, exec, s[18:19]
	s_mov_b32 s4, 0x3eb5c63d
	s_mov_b32 s5, 0x3e8483fa
	v_pk_mul_f32 v[6:7], v[8:9], s[4:5]
	v_sub_f32_e32 v6, v6, v7
	v_cndmask_b32_e64 v5, v5, v6, s[8:9]
.LBB13_75:
	s_or_b64 exec, exec, s[16:17]
                                        ; implicit-def: $vgpr6_vgpr7_vgpr8_vgpr9
.LBB13_76:
	s_andn2_saveexec_b64 s[16:17], s[6:7]
	s_cbranch_execz .LBB13_86
; %bb.77:
	s_mov_b32 s4, 0x8f800000
	v_mul_f32_e32 v5, 0xcf800000, v9
	v_cmp_lt_f32_e32 vcc, s4, v9
	v_cndmask_b32_e64 v5, -v9, v5, vcc
	v_sqrt_f32_e32 v6, v5
	v_mul_f32_e32 v7, -2.0, v9
	s_mov_b32 s6, 0x40400000
	v_add_u32_e32 v8, -1, v6
	v_fma_f32 v9, -v8, v6, v5
	v_cmp_ge_f32_e64 s[4:5], 0, v9
	v_add_u32_e32 v9, 1, v6
	v_cndmask_b32_e64 v8, v6, v8, s[4:5]
	v_fma_f32 v6, -v9, v6, v5
	v_cmp_lt_f32_e64 s[4:5], 0, v6
	v_cndmask_b32_e64 v6, v8, v9, s[4:5]
	v_mul_f32_e32 v8, 0x37800000, v6
	v_cndmask_b32_e32 v6, v6, v8, vcc
	v_mov_b32_e32 v8, 0x260
	v_cmp_class_f32_e32 vcc, v5, v8
	v_cndmask_b32_e32 v5, v6, v5, vcc
	v_mul_f32_e32 v6, v7, v5
	v_div_scale_f32 v7, s[4:5], s6, s6, v6
	v_rcp_f32_e32 v8, v7
	s_brev_b32 s4, 18
	v_fma_f32 v9, -v7, v8, 1.0
	v_fmac_f32_e32 v8, v9, v8
	v_div_scale_f32 v9, vcc, v6, s6, v6
	v_mul_f32_e32 v10, v9, v8
	v_fma_f32 v11, -v7, v10, v9
	v_fmac_f32_e32 v10, v11, v8
	v_fma_f32 v7, -v7, v10, v9
	v_div_fmas_f32 v7, v7, v8, v10
	v_div_fixup_f32 v8, v7, s6, v6
	v_add_f32_e32 v6, 0x3f490fdb, v8
	v_and_b32_e32 v7, 0x7fffffff, v6
	v_cmp_nlt_f32_e64 s[18:19], |v6|, s4
	v_lshrrev_b32_e32 v13, 23, v7
                                        ; implicit-def: $vgpr9
                                        ; implicit-def: $vgpr10
	s_and_saveexec_b64 s[4:5], s[18:19]
	s_xor_b64 s[20:21], exec, s[4:5]
	s_cbranch_execz .LBB13_79
; %bb.78:
	v_add_u32_e32 v9, 0xffffff88, v13
	v_not_b32_e32 v10, 63
	v_cmp_lt_u32_e32 vcc, 63, v9
	v_cndmask_b32_e32 v10, 0, v10, vcc
	v_add_u32_e32 v9, v10, v9
	v_not_b32_e32 v10, 31
	v_cmp_lt_u32_e64 s[4:5], 31, v9
	v_cndmask_b32_e64 v12, 0, v10, s[4:5]
	v_add_u32_e32 v9, v12, v9
	v_cmp_lt_u32_e64 s[6:7], 31, v9
	v_cndmask_b32_e64 v10, 0, v10, s[6:7]
	v_add_u32_e32 v9, v10, v9
	v_and_b32_e32 v10, 0x7fffff, v7
	v_or_b32_e32 v12, 0x800000, v10
	s_mov_b32 s8, 0xfe5163ab
	v_mad_u64_u32 v[16:17], s[8:9], v12, s8, 0
	v_mov_b32_e32 v11, 0
	v_mov_b32_e32 v10, v17
	s_mov_b32 s8, 0x3c439041
	v_mad_u64_u32 v[18:19], s[8:9], v12, s8, v[10:11]
	v_mov_b32_e32 v10, v19
	s_mov_b32 s8, 0xdb629599
	v_mad_u64_u32 v[20:21], s[8:9], v12, s8, v[10:11]
	;; [unrolled: 3-line block ×6, first 2 shown]
	v_cndmask_b32_e32 v15, v26, v22, vcc
	v_cndmask_b32_e32 v10, v10, v24, vcc
	;; [unrolled: 1-line block ×3, first 2 shown]
	v_cndmask_b32_e64 v12, v10, v15, s[4:5]
	v_cndmask_b32_e64 v10, v11, v10, s[4:5]
	v_cndmask_b32_e32 v11, v24, v20, vcc
	v_cndmask_b32_e64 v15, v15, v11, s[4:5]
	v_cndmask_b32_e64 v10, v10, v12, s[6:7]
	;; [unrolled: 1-line block ×3, first 2 shown]
	v_sub_u32_e32 v17, 32, v9
	v_alignbit_b32 v19, v10, v12, v17
	v_cmp_eq_u32_e64 s[8:9], 0, v9
	v_cndmask_b32_e64 v9, v19, v10, s[8:9]
	v_cndmask_b32_e32 v10, v22, v18, vcc
	v_cndmask_b32_e64 v11, v11, v10, s[4:5]
	v_cndmask_b32_e64 v15, v15, v11, s[6:7]
	v_alignbit_b32 v18, v12, v15, v17
	v_cndmask_b32_e32 v16, v20, v16, vcc
	v_cndmask_b32_e64 v12, v18, v12, s[8:9]
	v_bfe_u32 v21, v9, 29, 1
	v_cndmask_b32_e64 v10, v10, v16, s[4:5]
	v_alignbit_b32 v18, v9, v12, 30
	v_sub_u32_e32 v22, 0, v21
	v_cndmask_b32_e64 v10, v11, v10, s[6:7]
	v_xor_b32_e32 v23, v18, v22
	v_alignbit_b32 v11, v15, v10, v17
	v_cndmask_b32_e64 v11, v11, v15, s[8:9]
	v_ffbh_u32_e32 v15, v23
	v_add_u32_e32 v15, 1, v15
	v_cmp_ne_u32_e32 vcc, v18, v22
	v_alignbit_b32 v12, v12, v11, 30
	v_cndmask_b32_e32 v15, 33, v15, vcc
	v_alignbit_b32 v10, v11, v10, 30
	v_xor_b32_e32 v12, v12, v22
	v_sub_u32_e32 v16, 32, v15
	v_xor_b32_e32 v10, v10, v22
	v_alignbit_b32 v17, v23, v12, v16
	v_alignbit_b32 v10, v12, v10, v16
	;; [unrolled: 1-line block ×3, first 2 shown]
	v_ffbh_u32_e32 v12, v11
	v_min_u32_e32 v12, 32, v12
	v_lshrrev_b32_e32 v19, 29, v9
	v_sub_u32_e32 v16, 31, v12
	v_alignbit_b32 v10, v11, v10, v16
	v_lshlrev_b32_e32 v11, 31, v19
	v_or_b32_e32 v16, 0x33800000, v11
	v_add_lshl_u32 v12, v12, v15, 23
	v_lshrrev_b32_e32 v10, 9, v10
	v_sub_u32_e32 v12, v16, v12
	v_or_b32_e32 v10, v12, v10
	v_alignbit_b32 v12, v15, v17, 9
	v_or_b32_e32 v11, v12, v11
	v_xor_b32_e32 v11, 1.0, v11
	s_mov_b32 s4, 0x3fc90fda
	v_mul_f32_e32 v12, 0x3fc90fda, v11
	v_fma_f32 v15, v11, s4, -v12
	v_fmac_f32_e32 v15, 0x33a22168, v11
	v_fmac_f32_e32 v15, 0x3fc90fda, v10
	v_lshrrev_b32_e32 v9, 30, v9
	v_add_f32_e32 v10, v12, v15
	v_add_u32_e32 v9, v21, v9
	s_andn2_saveexec_b64 s[4:5], s[20:21]
	s_branch .LBB13_80
.LBB13_79:
	s_andn2_saveexec_b64 s[4:5], s[20:21]
.LBB13_80:
	s_mov_b32 s6, 0x3f22f983
	v_mul_f32_e64 v9, |v6|, s6
	v_rndne_f32_e32 v11, v9
	s_mov_b32 s6, 0xbfc90fda
	v_cvt_i32_f32_e32 v9, v11
	v_fma_f32 v10, v11, s6, |v6|
	v_fmac_f32_e32 v10, 0xb3a22168, v11
	v_fmac_f32_e32 v10, 0xa7c234c4, v11
; %bb.81:
	s_or_b64 exec, exec, s[4:5]
                                        ; implicit-def: $vgpr11
                                        ; implicit-def: $vgpr12
	s_and_saveexec_b64 s[4:5], s[18:19]
	s_xor_b64 s[18:19], exec, s[4:5]
	s_cbranch_execz .LBB13_83
; %bb.82:
	v_add_u32_e32 v11, 0xffffff88, v13
	v_not_b32_e32 v12, 63
	v_cmp_lt_u32_e32 vcc, 63, v11
	v_cndmask_b32_e32 v12, 0, v12, vcc
	v_add_u32_e32 v11, v12, v11
	v_not_b32_e32 v12, 31
	v_cmp_lt_u32_e64 s[4:5], 31, v11
	v_cndmask_b32_e64 v15, 0, v12, s[4:5]
	v_add_u32_e32 v11, v15, v11
	v_cmp_lt_u32_e64 s[6:7], 31, v11
	v_cndmask_b32_e64 v12, 0, v12, s[6:7]
	v_add_u32_e32 v11, v12, v11
	v_and_b32_e32 v12, 0x7fffff, v7
	v_or_b32_e32 v15, 0x800000, v12
	s_mov_b32 s8, 0xfe5163ab
	v_mad_u64_u32 v[16:17], s[8:9], v15, s8, 0
	v_mov_b32_e32 v13, 0
	v_mov_b32_e32 v12, v17
	s_mov_b32 s8, 0x3c439041
	v_mad_u64_u32 v[18:19], s[8:9], v15, s8, v[12:13]
	v_mov_b32_e32 v12, v19
	s_mov_b32 s8, 0xdb629599
	v_mad_u64_u32 v[20:21], s[8:9], v15, s8, v[12:13]
	v_mov_b32_e32 v12, v21
	s_mov_b32 s8, 0xf534ddc0
	v_mad_u64_u32 v[22:23], s[8:9], v15, s8, v[12:13]
	v_mov_b32_e32 v12, v23
	s_mov_b32 s8, 0xfc2757d1
	v_mad_u64_u32 v[24:25], s[8:9], v15, s8, v[12:13]
	v_mov_b32_e32 v12, v25
	s_mov_b32 s8, 0x4e441529
	v_mad_u64_u32 v[26:27], s[8:9], v15, s8, v[12:13]
	v_mov_b32_e32 v12, v27
	s_mov_b32 s8, 0xa2f9836e
	v_mad_u64_u32 v[12:13], s[8:9], v15, s8, v[12:13]
	v_cndmask_b32_e32 v17, v26, v22, vcc
	v_cndmask_b32_e32 v12, v12, v24, vcc
	;; [unrolled: 1-line block ×3, first 2 shown]
	v_cndmask_b32_e64 v15, v12, v17, s[4:5]
	v_cndmask_b32_e64 v12, v13, v12, s[4:5]
	v_cndmask_b32_e32 v13, v24, v20, vcc
	v_cndmask_b32_e64 v17, v17, v13, s[4:5]
	v_cndmask_b32_e64 v12, v12, v15, s[6:7]
	;; [unrolled: 1-line block ×3, first 2 shown]
	v_sub_u32_e32 v19, 32, v11
	v_alignbit_b32 v21, v12, v15, v19
	v_cmp_eq_u32_e64 s[8:9], 0, v11
	v_cndmask_b32_e64 v11, v21, v12, s[8:9]
	v_cndmask_b32_e32 v12, v22, v18, vcc
	v_cndmask_b32_e64 v13, v13, v12, s[4:5]
	v_cndmask_b32_e64 v17, v17, v13, s[6:7]
	v_alignbit_b32 v18, v15, v17, v19
	v_cndmask_b32_e64 v15, v18, v15, s[8:9]
	v_bfe_u32 v22, v11, 29, 1
	v_cndmask_b32_e32 v16, v20, v16, vcc
	v_alignbit_b32 v18, v11, v15, 30
	v_sub_u32_e32 v23, 0, v22
	v_cndmask_b32_e64 v12, v12, v16, s[4:5]
	v_xor_b32_e32 v24, v18, v23
	v_cndmask_b32_e64 v12, v13, v12, s[6:7]
	v_alignbit_b32 v13, v17, v12, v19
	v_ffbh_u32_e32 v16, v24
	v_cndmask_b32_e64 v13, v13, v17, s[8:9]
	v_add_u32_e32 v16, 1, v16
	v_cmp_ne_u32_e32 vcc, v18, v23
	v_alignbit_b32 v15, v15, v13, 30
	v_cndmask_b32_e32 v16, 33, v16, vcc
	v_alignbit_b32 v12, v13, v12, 30
	v_xor_b32_e32 v15, v15, v23
	v_sub_u32_e32 v17, 32, v16
	v_xor_b32_e32 v12, v12, v23
	v_alignbit_b32 v18, v24, v15, v17
	v_alignbit_b32 v12, v15, v12, v17
	;; [unrolled: 1-line block ×3, first 2 shown]
	v_ffbh_u32_e32 v15, v13
	v_min_u32_e32 v15, 32, v15
	v_lshrrev_b32_e32 v21, 29, v11
	v_sub_u32_e32 v17, 31, v15
	v_alignbit_b32 v12, v13, v12, v17
	v_lshlrev_b32_e32 v13, 31, v21
	v_or_b32_e32 v17, 0x33800000, v13
	v_add_lshl_u32 v15, v15, v16, 23
	v_lshrrev_b32_e32 v12, 9, v12
	v_sub_u32_e32 v15, v17, v15
	v_or_b32_e32 v12, v15, v12
	v_alignbit_b32 v15, v16, v18, 9
	v_or_b32_e32 v13, v15, v13
	v_xor_b32_e32 v13, 1.0, v13
	s_mov_b32 s4, 0x3fc90fda
	v_mul_f32_e32 v15, 0x3fc90fda, v13
	v_fma_f32 v16, v13, s4, -v15
	v_fmac_f32_e32 v16, 0x33a22168, v13
	v_fmac_f32_e32 v16, 0x3fc90fda, v12
	v_lshrrev_b32_e32 v11, 30, v11
	v_add_f32_e32 v12, v15, v16
	v_add_u32_e32 v11, v22, v11
	s_andn2_saveexec_b64 s[4:5], s[18:19]
	s_cbranch_execnz .LBB13_84
	s_branch .LBB13_85
.LBB13_83:
	s_andn2_saveexec_b64 s[4:5], s[18:19]
.LBB13_84:
	s_mov_b32 s6, 0x3f22f983
	v_mul_f32_e64 v11, |v6|, s6
	v_rndne_f32_e32 v13, v11
	s_mov_b32 s6, 0xbfc90fda
	v_cvt_i32_f32_e32 v11, v13
	v_fma_f32 v12, v13, s6, |v6|
	v_fmac_f32_e32 v12, 0xb3a22168, v13
	v_fmac_f32_e32 v12, 0xa7c234c4, v13
.LBB13_85:
	s_or_b64 exec, exec, s[4:5]
	v_div_scale_f32 v13, s[4:5], v8, v8, 1.0
	v_rcp_f32_e32 v15, v13
	v_div_scale_f32 v16, vcc, 1.0, v8, 1.0
	v_mov_b32_e32 v21, 0xbab64f3b
	v_fma_f32 v17, -v13, v15, 1.0
	v_fmac_f32_e32 v15, v17, v15
	v_mul_f32_e32 v17, v16, v15
	v_fma_f32 v18, -v13, v17, v16
	v_fmac_f32_e32 v17, v18, v15
	v_fma_f32 v13, -v13, v17, v16
	v_div_fmas_f32 v13, v13, v15, v17
	v_div_fixup_f32 v8, v13, v8, 1.0
	v_mul_f32_e32 v13, v8, v8
	v_mov_b32_e32 v15, 0xbe06db67
	v_fmac_f32_e32 v15, 0, v13
	v_mov_b32_e32 v16, 0xbf205f75
	v_fmac_f32_e32 v16, v13, v15
	;; [unrolled: 2-line block ×18, first 2 shown]
	v_mul_f32_e32 v16, v10, v10
	v_mov_b32_e32 v19, 0x3c0881c4
	v_fmac_f32_e32 v21, 0x37d75334, v16
	v_mov_b32_e32 v22, 0x3d2aabf7
	v_fmac_f32_e32 v19, 0xb94c1982, v16
	v_mov_b32_e32 v20, 0xbe2aaa9d
	v_fma_f32 v21, v16, v21, v22
	v_mov_b32_e32 v23, 0xbf000004
	v_fma_f32 v19, v16, v19, v20
	v_fma_f32 v21, v16, v21, v23
	v_mul_f32_e32 v19, v16, v19
	v_fma_f32 v16, v16, v21, 1.0
	v_and_b32_e32 v21, 1, v9
	v_lshlrev_b32_e32 v9, 30, v9
	v_fmac_f32_e32 v10, v10, v19
	v_cmp_eq_u32_e32 vcc, 0, v21
	v_and_b32_e32 v9, 0x80000000, v9
	v_xor_b32_e32 v7, v7, v6
	v_cndmask_b32_e32 v10, v16, v10, vcc
	v_xor_b32_e32 v7, v7, v9
	v_mul_f32_e32 v9, v13, v17
	v_xor_b32_e32 v7, v7, v10
	v_div_scale_f32 v10, s[4:5], v15, v15, v9
	v_rcp_f32_e32 v16, v10
	s_movk_i32 s6, 0x1f8
	v_mov_b32_e32 v17, 0x7fc00000
	v_cmp_class_f32_e64 s[4:5], v6, s6
	v_cndmask_b32_e64 v6, v17, v7, s[4:5]
	v_fma_f32 v7, -v10, v16, 1.0
	v_fmac_f32_e32 v16, v7, v16
	v_div_scale_f32 v7, vcc, v9, v15, v9
	v_mul_f32_e32 v21, v7, v16
	v_fma_f32 v24, -v10, v21, v7
	v_fmac_f32_e32 v21, v24, v16
	v_fma_f32 v7, -v10, v21, v7
	v_div_fmas_f32 v7, v7, v16, v21
	v_div_fixup_f32 v7, v7, v15, v9
	v_mov_b32_e32 v9, 0x3ca1a92f
	v_fmac_f32_e32 v9, 0, v13
	v_mov_b32_e32 v10, 0x3ec83ea8
	v_fmac_f32_e32 v10, v13, v9
	;; [unrolled: 2-line block ×17, first 2 shown]
	v_mov_b32_e32 v10, 0x3b873823
	s_mov_b32 s6, 0xf800000
	v_fmac_f32_e32 v10, v13, v15
	v_mul_f32_e32 v15, 0x4f800000, v5
	v_cmp_gt_f32_e32 vcc, s6, v5
	v_cndmask_b32_e32 v5, v5, v15, vcc
	v_sqrt_f32_e32 v15, v5
	s_mov_b32 s8, 0x3f106ebb
	v_mov_b32_e32 v16, 0x38d45b0f
	v_fmac_f32_e32 v16, v13, v10
	v_add_u32_e32 v21, -1, v15
	v_fma_f32 v24, -v21, v15, v5
	v_cmp_ge_f32_e64 s[6:7], 0, v24
	v_add_u32_e32 v24, 1, v15
	v_cndmask_b32_e64 v21, v15, v21, s[6:7]
	v_fma_f32 v15, -v24, v15, v5
	v_cmp_lt_f32_e64 s[6:7], 0, v15
	v_cndmask_b32_e64 v15, v21, v24, s[6:7]
	v_mul_f32_e32 v21, 0x37800000, v15
	v_cndmask_b32_e32 v15, v15, v21, vcc
	v_mov_b32_e32 v21, 0x260
	v_cmp_class_f32_e32 vcc, v5, v21
	v_cndmask_b32_e32 v5, v15, v5, vcc
	v_div_scale_f32 v15, s[6:7], v5, v5, s8
	v_rcp_f32_e32 v21, v15
	v_mov_b32_e32 v10, 0x359d422f
	v_fmac_f32_e32 v10, v13, v16
	v_mov_b32_e32 v16, 0x31a8fe3a
	v_fmac_f32_e32 v16, v13, v10
	v_fma_f32 v10, -v15, v21, 1.0
	v_fmac_f32_e32 v21, v10, v21
	v_div_scale_f32 v10, vcc, s8, v5, s8
	v_mul_f32_e32 v13, v10, v21
	v_fma_f32 v24, -v15, v13, v10
	v_fmac_f32_e32 v13, v24, v21
	v_fma_f32 v10, -v15, v13, v10
	v_div_fmas_f32 v10, v10, v21, v13
	v_mov_b32_e32 v18, 0x3c0881c4
	v_div_fixup_f32 v5, v10, v5, s8
	v_mul_f32_e32 v10, v12, v12
	v_mov_b32_e32 v19, 0xbab64f3b
	v_fmac_f32_e32 v18, 0xb94c1982, v10
	v_fmac_f32_e32 v20, v10, v18
	;; [unrolled: 1-line block ×3, first 2 shown]
	v_mul_f32_e32 v13, v10, v20
	v_fmac_f32_e32 v22, v10, v19
	v_fmac_f32_e32 v12, v12, v13
	;; [unrolled: 1-line block ×3, first 2 shown]
	v_and_b32_e32 v13, 1, v11
	v_mul_f32_e32 v8, v8, v9
	v_fma_f32 v10, v10, v23, 1.0
	v_cmp_eq_u32_e32 vcc, 0, v13
	v_div_scale_f32 v9, s[6:7], v16, v16, v8
	v_cndmask_b32_e64 v10, -v12, v10, vcc
	v_rcp_f32_e32 v12, v9
	v_lshlrev_b32_e32 v11, 30, v11
	v_and_b32_e32 v11, 0x80000000, v11
	v_xor_b32_e32 v10, v11, v10
	v_fma_f32 v11, -v9, v12, 1.0
	v_fmac_f32_e32 v12, v11, v12
	v_div_scale_f32 v11, vcc, v8, v16, v8
	v_mul_f32_e32 v13, v11, v12
	v_fma_f32 v15, -v9, v13, v11
	v_fmac_f32_e32 v13, v15, v12
	v_fma_f32 v9, -v9, v13, v11
	v_div_fmas_f32 v9, v9, v12, v13
	v_cndmask_b32_e64 v10, v17, v10, s[4:5]
	v_div_fixup_f32 v8, v9, v16, v8
	v_add_f32_e32 v7, 1.0, v7
	v_mul_f32_e32 v8, v8, v10
	v_fma_f32 v6, v7, v6, -v8
	v_mul_f32_e32 v5, v5, v6
.LBB13_86:
	s_or_b64 exec, exec, s[16:17]
.LBB13_87:
	s_or_b64 exec, exec, s[14:15]
.LBB13_88:
	s_or_b64 exec, exec, s[12:13]
	v_mov_b32_e32 v6, s11
	v_add_co_u32_e32 v0, vcc, s10, v0
	v_addc_co_u32_e32 v1, vcc, v1, v6, vcc
	v_add_co_u32_e32 v0, vcc, v0, v14
	v_addc_co_u32_e32 v1, vcc, 0, v1, vcc
	flat_store_dwordx4 v[0:1], v[2:5]
	s_waitcnt vmcnt(0) lgkmcnt(0)
	s_setpc_b64 s[30:31]
.Lfunc_end13:
	.size	_ZN2at6native25elementwise_kernel_helperILb0EZZZNS0_12_GLOBAL__N_119airy_ai_kernel_cudaERNS_18TensorIteratorBaseEENKUlvE_clEvENKUlvE0_clEvEUlfE_NS0_6memory8policies10vectorizedILi4ESt5arrayIPcLm2EELi4EEEEEvT0_T1_, .Lfunc_end13-_ZN2at6native25elementwise_kernel_helperILb0EZZZNS0_12_GLOBAL__N_119airy_ai_kernel_cudaERNS_18TensorIteratorBaseEENKUlvE_clEvENKUlvE0_clEvEUlfE_NS0_6memory8policies10vectorizedILi4ESt5arrayIPcLm2EELi4EEEEEvT0_T1_
                                        ; -- End function
	.section	.AMDGPU.csdata,"",@progbits
; Function info:
; codeLenInByte = 17132
; NumSgprs: 36
; NumVgprs: 32
; NumAgprs: 0
; TotalNumVgprs: 32
; ScratchSize: 0
; MemoryBound: 0
	.section	.text._ZN2at6native29vectorized_elementwise_kernelILi16EZZZNS0_12_GLOBAL__N_119airy_ai_kernel_cudaERNS_18TensorIteratorBaseEENKUlvE_clEvENKUlvE0_clEvEUlfE_St5arrayIPcLm2EEEEviT0_T1_,"axG",@progbits,_ZN2at6native29vectorized_elementwise_kernelILi16EZZZNS0_12_GLOBAL__N_119airy_ai_kernel_cudaERNS_18TensorIteratorBaseEENKUlvE_clEvENKUlvE0_clEvEUlfE_St5arrayIPcLm2EEEEviT0_T1_,comdat
	.globl	_ZN2at6native29vectorized_elementwise_kernelILi16EZZZNS0_12_GLOBAL__N_119airy_ai_kernel_cudaERNS_18TensorIteratorBaseEENKUlvE_clEvENKUlvE0_clEvEUlfE_St5arrayIPcLm2EEEEviT0_T1_ ; -- Begin function _ZN2at6native29vectorized_elementwise_kernelILi16EZZZNS0_12_GLOBAL__N_119airy_ai_kernel_cudaERNS_18TensorIteratorBaseEENKUlvE_clEvENKUlvE0_clEvEUlfE_St5arrayIPcLm2EEEEviT0_T1_
	.p2align	8
	.type	_ZN2at6native29vectorized_elementwise_kernelILi16EZZZNS0_12_GLOBAL__N_119airy_ai_kernel_cudaERNS_18TensorIteratorBaseEENKUlvE_clEvENKUlvE0_clEvEUlfE_St5arrayIPcLm2EEEEviT0_T1_,@function
_ZN2at6native29vectorized_elementwise_kernelILi16EZZZNS0_12_GLOBAL__N_119airy_ai_kernel_cudaERNS_18TensorIteratorBaseEENKUlvE_clEvENKUlvE0_clEvEUlfE_St5arrayIPcLm2EEEEviT0_T1_: ; @_ZN2at6native29vectorized_elementwise_kernelILi16EZZZNS0_12_GLOBAL__N_119airy_ai_kernel_cudaERNS_18TensorIteratorBaseEENKUlvE_clEvENKUlvE0_clEvEUlfE_St5arrayIPcLm2EEEEviT0_T1_
; %bb.0:
	s_add_u32 flat_scratch_lo, s6, s9
	s_load_dword s6, s[4:5], 0x0
	s_load_dwordx4 s[36:39], s[4:5], 0x8
	s_addc_u32 flat_scratch_hi, s7, 0
	s_add_u32 s0, s0, s9
	s_addc_u32 s1, s1, 0
	s_lshl_b32 s4, s8, 10
	s_waitcnt lgkmcnt(0)
	s_sub_i32 s27, s6, s4
	s_mov_b32 s26, s8
	v_mov_b32_e32 v31, v0
	s_cmpk_gt_i32 s27, 0x3ff
	s_mov_b64 s[4:5], -1
	s_mov_b32 s32, 0
	s_cbranch_scc1 .LBB14_3
; %bb.1:
	s_andn2_b64 vcc, exec, s[4:5]
	s_cbranch_vccz .LBB14_4
.LBB14_2:
	s_endpgm
.LBB14_3:
	s_mov_b32 s12, s26
	v_mov_b32_e32 v0, s36
	v_mov_b32_e32 v1, s37
	;; [unrolled: 1-line block ×4, first 2 shown]
	s_getpc_b64 s[4:5]
	s_add_u32 s4, s4, _ZN2at6native25elementwise_kernel_helperILb0EZZZNS0_12_GLOBAL__N_119airy_ai_kernel_cudaERNS_18TensorIteratorBaseEENKUlvE_clEvENKUlvE0_clEvEUlfE_NS0_6memory8policies10vectorizedILi4ESt5arrayIPcLm2EELi4EEEEEvT0_T1_@rel32@lo+4
	s_addc_u32 s5, s5, _ZN2at6native25elementwise_kernel_helperILb0EZZZNS0_12_GLOBAL__N_119airy_ai_kernel_cudaERNS_18TensorIteratorBaseEENKUlvE_clEvENKUlvE0_clEvEUlfE_NS0_6memory8policies10vectorizedILi4ESt5arrayIPcLm2EELi4EEEEEvT0_T1_@rel32@hi+12
	s_swappc_b64 s[30:31], s[4:5]
	s_cbranch_execnz .LBB14_2
.LBB14_4:
	s_mov_b32 s12, s26
	v_mov_b32_e32 v0, s36
	v_mov_b32_e32 v1, s37
	;; [unrolled: 1-line block ×5, first 2 shown]
	s_getpc_b64 s[4:5]
	s_add_u32 s4, s4, _ZN2at6native25elementwise_kernel_helperILb0EZZZNS0_12_GLOBAL__N_119airy_ai_kernel_cudaERNS_18TensorIteratorBaseEENKUlvE_clEvENKUlvE0_clEvEUlfE_NS0_6memory8policies11unroll_baseILi256ESt5arrayIPcLm2EE23TrivialOffsetCalculatorILi1EjESF_NS8_15LoadWithoutCastENS8_16StoreWithoutCastELi4ELi1EEEEEvT0_T1_@rel32@lo+4
	s_addc_u32 s5, s5, _ZN2at6native25elementwise_kernel_helperILb0EZZZNS0_12_GLOBAL__N_119airy_ai_kernel_cudaERNS_18TensorIteratorBaseEENKUlvE_clEvENKUlvE0_clEvEUlfE_NS0_6memory8policies11unroll_baseILi256ESt5arrayIPcLm2EE23TrivialOffsetCalculatorILi1EjESF_NS8_15LoadWithoutCastENS8_16StoreWithoutCastELi4ELi1EEEEEvT0_T1_@rel32@hi+12
	s_swappc_b64 s[30:31], s[4:5]
	s_endpgm
	.section	.rodata,"a",@progbits
	.p2align	6, 0x0
	.amdhsa_kernel _ZN2at6native29vectorized_elementwise_kernelILi16EZZZNS0_12_GLOBAL__N_119airy_ai_kernel_cudaERNS_18TensorIteratorBaseEENKUlvE_clEvENKUlvE0_clEvEUlfE_St5arrayIPcLm2EEEEviT0_T1_
		.amdhsa_group_segment_fixed_size 0
		.amdhsa_private_segment_fixed_size 0
		.amdhsa_kernarg_size 24
		.amdhsa_user_sgpr_count 8
		.amdhsa_user_sgpr_private_segment_buffer 1
		.amdhsa_user_sgpr_dispatch_ptr 0
		.amdhsa_user_sgpr_queue_ptr 0
		.amdhsa_user_sgpr_kernarg_segment_ptr 1
		.amdhsa_user_sgpr_dispatch_id 0
		.amdhsa_user_sgpr_flat_scratch_init 1
		.amdhsa_user_sgpr_kernarg_preload_length 0
		.amdhsa_user_sgpr_kernarg_preload_offset 0
		.amdhsa_user_sgpr_private_segment_size 0
		.amdhsa_uses_dynamic_stack 0
		.amdhsa_system_sgpr_private_segment_wavefront_offset 0
		.amdhsa_system_sgpr_workgroup_id_x 1
		.amdhsa_system_sgpr_workgroup_id_y 0
		.amdhsa_system_sgpr_workgroup_id_z 0
		.amdhsa_system_sgpr_workgroup_info 0
		.amdhsa_system_vgpr_workitem_id 0
		.amdhsa_next_free_vgpr 34
		.amdhsa_next_free_sgpr 40
		.amdhsa_accum_offset 36
		.amdhsa_reserve_vcc 1
		.amdhsa_reserve_flat_scratch 1
		.amdhsa_float_round_mode_32 0
		.amdhsa_float_round_mode_16_64 0
		.amdhsa_float_denorm_mode_32 3
		.amdhsa_float_denorm_mode_16_64 3
		.amdhsa_dx10_clamp 1
		.amdhsa_ieee_mode 1
		.amdhsa_fp16_overflow 0
		.amdhsa_tg_split 0
		.amdhsa_exception_fp_ieee_invalid_op 0
		.amdhsa_exception_fp_denorm_src 0
		.amdhsa_exception_fp_ieee_div_zero 0
		.amdhsa_exception_fp_ieee_overflow 0
		.amdhsa_exception_fp_ieee_underflow 0
		.amdhsa_exception_fp_ieee_inexact 0
		.amdhsa_exception_int_div_zero 0
	.end_amdhsa_kernel
	.section	.text._ZN2at6native29vectorized_elementwise_kernelILi16EZZZNS0_12_GLOBAL__N_119airy_ai_kernel_cudaERNS_18TensorIteratorBaseEENKUlvE_clEvENKUlvE0_clEvEUlfE_St5arrayIPcLm2EEEEviT0_T1_,"axG",@progbits,_ZN2at6native29vectorized_elementwise_kernelILi16EZZZNS0_12_GLOBAL__N_119airy_ai_kernel_cudaERNS_18TensorIteratorBaseEENKUlvE_clEvENKUlvE0_clEvEUlfE_St5arrayIPcLm2EEEEviT0_T1_,comdat
.Lfunc_end14:
	.size	_ZN2at6native29vectorized_elementwise_kernelILi16EZZZNS0_12_GLOBAL__N_119airy_ai_kernel_cudaERNS_18TensorIteratorBaseEENKUlvE_clEvENKUlvE0_clEvEUlfE_St5arrayIPcLm2EEEEviT0_T1_, .Lfunc_end14-_ZN2at6native29vectorized_elementwise_kernelILi16EZZZNS0_12_GLOBAL__N_119airy_ai_kernel_cudaERNS_18TensorIteratorBaseEENKUlvE_clEvENKUlvE0_clEvEUlfE_St5arrayIPcLm2EEEEviT0_T1_
                                        ; -- End function
	.section	.AMDGPU.csdata,"",@progbits
; Kernel info:
; codeLenInByte = 180
; NumSgprs: 46
; NumVgprs: 34
; NumAgprs: 0
; TotalNumVgprs: 34
; ScratchSize: 0
; MemoryBound: 0
; FloatMode: 240
; IeeeMode: 1
; LDSByteSize: 0 bytes/workgroup (compile time only)
; SGPRBlocks: 5
; VGPRBlocks: 4
; NumSGPRsForWavesPerEU: 46
; NumVGPRsForWavesPerEU: 34
; AccumOffset: 36
; Occupancy: 8
; WaveLimiterHint : 0
; COMPUTE_PGM_RSRC2:SCRATCH_EN: 0
; COMPUTE_PGM_RSRC2:USER_SGPR: 8
; COMPUTE_PGM_RSRC2:TRAP_HANDLER: 0
; COMPUTE_PGM_RSRC2:TGID_X_EN: 1
; COMPUTE_PGM_RSRC2:TGID_Y_EN: 0
; COMPUTE_PGM_RSRC2:TGID_Z_EN: 0
; COMPUTE_PGM_RSRC2:TIDIG_COMP_CNT: 0
; COMPUTE_PGM_RSRC3_GFX90A:ACCUM_OFFSET: 8
; COMPUTE_PGM_RSRC3_GFX90A:TG_SPLIT: 0
	.section	.text._ZN2at6native29vectorized_elementwise_kernelILi8EZZZNS0_12_GLOBAL__N_119airy_ai_kernel_cudaERNS_18TensorIteratorBaseEENKUlvE_clEvENKUlvE0_clEvEUlfE_St5arrayIPcLm2EEEEviT0_T1_,"axG",@progbits,_ZN2at6native29vectorized_elementwise_kernelILi8EZZZNS0_12_GLOBAL__N_119airy_ai_kernel_cudaERNS_18TensorIteratorBaseEENKUlvE_clEvENKUlvE0_clEvEUlfE_St5arrayIPcLm2EEEEviT0_T1_,comdat
	.globl	_ZN2at6native29vectorized_elementwise_kernelILi8EZZZNS0_12_GLOBAL__N_119airy_ai_kernel_cudaERNS_18TensorIteratorBaseEENKUlvE_clEvENKUlvE0_clEvEUlfE_St5arrayIPcLm2EEEEviT0_T1_ ; -- Begin function _ZN2at6native29vectorized_elementwise_kernelILi8EZZZNS0_12_GLOBAL__N_119airy_ai_kernel_cudaERNS_18TensorIteratorBaseEENKUlvE_clEvENKUlvE0_clEvEUlfE_St5arrayIPcLm2EEEEviT0_T1_
	.p2align	8
	.type	_ZN2at6native29vectorized_elementwise_kernelILi8EZZZNS0_12_GLOBAL__N_119airy_ai_kernel_cudaERNS_18TensorIteratorBaseEENKUlvE_clEvENKUlvE0_clEvEUlfE_St5arrayIPcLm2EEEEviT0_T1_,@function
_ZN2at6native29vectorized_elementwise_kernelILi8EZZZNS0_12_GLOBAL__N_119airy_ai_kernel_cudaERNS_18TensorIteratorBaseEENKUlvE_clEvENKUlvE0_clEvEUlfE_St5arrayIPcLm2EEEEviT0_T1_: ; @_ZN2at6native29vectorized_elementwise_kernelILi8EZZZNS0_12_GLOBAL__N_119airy_ai_kernel_cudaERNS_18TensorIteratorBaseEENKUlvE_clEvENKUlvE0_clEvEUlfE_St5arrayIPcLm2EEEEviT0_T1_
; %bb.0:
	s_add_u32 flat_scratch_lo, s6, s9
	s_load_dword s6, s[4:5], 0x0
	s_load_dwordx4 s[36:39], s[4:5], 0x8
	s_addc_u32 flat_scratch_hi, s7, 0
	s_add_u32 s0, s0, s9
	s_addc_u32 s1, s1, 0
	s_lshl_b32 s4, s8, 10
	s_waitcnt lgkmcnt(0)
	s_sub_i32 s27, s6, s4
	s_mov_b32 s26, s8
	v_mov_b32_e32 v31, v0
	s_cmpk_gt_i32 s27, 0x3ff
	s_mov_b64 s[4:5], -1
	s_mov_b32 s32, 0
	s_cbranch_scc1 .LBB15_3
; %bb.1:
	s_andn2_b64 vcc, exec, s[4:5]
	s_cbranch_vccz .LBB15_4
.LBB15_2:
	s_endpgm
.LBB15_3:
	s_mov_b32 s12, s26
	v_mov_b32_e32 v0, s36
	v_mov_b32_e32 v1, s37
	;; [unrolled: 1-line block ×4, first 2 shown]
	s_getpc_b64 s[4:5]
	s_add_u32 s4, s4, _ZN2at6native25elementwise_kernel_helperILb0EZZZNS0_12_GLOBAL__N_119airy_ai_kernel_cudaERNS_18TensorIteratorBaseEENKUlvE_clEvENKUlvE0_clEvEUlfE_NS0_6memory8policies10vectorizedILi4ESt5arrayIPcLm2EELi4EEEEEvT0_T1_@rel32@lo+4
	s_addc_u32 s5, s5, _ZN2at6native25elementwise_kernel_helperILb0EZZZNS0_12_GLOBAL__N_119airy_ai_kernel_cudaERNS_18TensorIteratorBaseEENKUlvE_clEvENKUlvE0_clEvEUlfE_NS0_6memory8policies10vectorizedILi4ESt5arrayIPcLm2EELi4EEEEEvT0_T1_@rel32@hi+12
	s_swappc_b64 s[30:31], s[4:5]
	s_cbranch_execnz .LBB15_2
.LBB15_4:
	s_mov_b32 s12, s26
	v_mov_b32_e32 v0, s36
	v_mov_b32_e32 v1, s37
	;; [unrolled: 1-line block ×5, first 2 shown]
	s_getpc_b64 s[4:5]
	s_add_u32 s4, s4, _ZN2at6native25elementwise_kernel_helperILb0EZZZNS0_12_GLOBAL__N_119airy_ai_kernel_cudaERNS_18TensorIteratorBaseEENKUlvE_clEvENKUlvE0_clEvEUlfE_NS0_6memory8policies11unroll_baseILi256ESt5arrayIPcLm2EE23TrivialOffsetCalculatorILi1EjESF_NS8_15LoadWithoutCastENS8_16StoreWithoutCastELi4ELi1EEEEEvT0_T1_@rel32@lo+4
	s_addc_u32 s5, s5, _ZN2at6native25elementwise_kernel_helperILb0EZZZNS0_12_GLOBAL__N_119airy_ai_kernel_cudaERNS_18TensorIteratorBaseEENKUlvE_clEvENKUlvE0_clEvEUlfE_NS0_6memory8policies11unroll_baseILi256ESt5arrayIPcLm2EE23TrivialOffsetCalculatorILi1EjESF_NS8_15LoadWithoutCastENS8_16StoreWithoutCastELi4ELi1EEEEEvT0_T1_@rel32@hi+12
	s_swappc_b64 s[30:31], s[4:5]
	s_endpgm
	.section	.rodata,"a",@progbits
	.p2align	6, 0x0
	.amdhsa_kernel _ZN2at6native29vectorized_elementwise_kernelILi8EZZZNS0_12_GLOBAL__N_119airy_ai_kernel_cudaERNS_18TensorIteratorBaseEENKUlvE_clEvENKUlvE0_clEvEUlfE_St5arrayIPcLm2EEEEviT0_T1_
		.amdhsa_group_segment_fixed_size 0
		.amdhsa_private_segment_fixed_size 0
		.amdhsa_kernarg_size 24
		.amdhsa_user_sgpr_count 8
		.amdhsa_user_sgpr_private_segment_buffer 1
		.amdhsa_user_sgpr_dispatch_ptr 0
		.amdhsa_user_sgpr_queue_ptr 0
		.amdhsa_user_sgpr_kernarg_segment_ptr 1
		.amdhsa_user_sgpr_dispatch_id 0
		.amdhsa_user_sgpr_flat_scratch_init 1
		.amdhsa_user_sgpr_kernarg_preload_length 0
		.amdhsa_user_sgpr_kernarg_preload_offset 0
		.amdhsa_user_sgpr_private_segment_size 0
		.amdhsa_uses_dynamic_stack 0
		.amdhsa_system_sgpr_private_segment_wavefront_offset 0
		.amdhsa_system_sgpr_workgroup_id_x 1
		.amdhsa_system_sgpr_workgroup_id_y 0
		.amdhsa_system_sgpr_workgroup_id_z 0
		.amdhsa_system_sgpr_workgroup_info 0
		.amdhsa_system_vgpr_workitem_id 0
		.amdhsa_next_free_vgpr 34
		.amdhsa_next_free_sgpr 40
		.amdhsa_accum_offset 36
		.amdhsa_reserve_vcc 1
		.amdhsa_reserve_flat_scratch 1
		.amdhsa_float_round_mode_32 0
		.amdhsa_float_round_mode_16_64 0
		.amdhsa_float_denorm_mode_32 3
		.amdhsa_float_denorm_mode_16_64 3
		.amdhsa_dx10_clamp 1
		.amdhsa_ieee_mode 1
		.amdhsa_fp16_overflow 0
		.amdhsa_tg_split 0
		.amdhsa_exception_fp_ieee_invalid_op 0
		.amdhsa_exception_fp_denorm_src 0
		.amdhsa_exception_fp_ieee_div_zero 0
		.amdhsa_exception_fp_ieee_overflow 0
		.amdhsa_exception_fp_ieee_underflow 0
		.amdhsa_exception_fp_ieee_inexact 0
		.amdhsa_exception_int_div_zero 0
	.end_amdhsa_kernel
	.section	.text._ZN2at6native29vectorized_elementwise_kernelILi8EZZZNS0_12_GLOBAL__N_119airy_ai_kernel_cudaERNS_18TensorIteratorBaseEENKUlvE_clEvENKUlvE0_clEvEUlfE_St5arrayIPcLm2EEEEviT0_T1_,"axG",@progbits,_ZN2at6native29vectorized_elementwise_kernelILi8EZZZNS0_12_GLOBAL__N_119airy_ai_kernel_cudaERNS_18TensorIteratorBaseEENKUlvE_clEvENKUlvE0_clEvEUlfE_St5arrayIPcLm2EEEEviT0_T1_,comdat
.Lfunc_end15:
	.size	_ZN2at6native29vectorized_elementwise_kernelILi8EZZZNS0_12_GLOBAL__N_119airy_ai_kernel_cudaERNS_18TensorIteratorBaseEENKUlvE_clEvENKUlvE0_clEvEUlfE_St5arrayIPcLm2EEEEviT0_T1_, .Lfunc_end15-_ZN2at6native29vectorized_elementwise_kernelILi8EZZZNS0_12_GLOBAL__N_119airy_ai_kernel_cudaERNS_18TensorIteratorBaseEENKUlvE_clEvENKUlvE0_clEvEUlfE_St5arrayIPcLm2EEEEviT0_T1_
                                        ; -- End function
	.section	.AMDGPU.csdata,"",@progbits
; Kernel info:
; codeLenInByte = 180
; NumSgprs: 46
; NumVgprs: 34
; NumAgprs: 0
; TotalNumVgprs: 34
; ScratchSize: 0
; MemoryBound: 0
; FloatMode: 240
; IeeeMode: 1
; LDSByteSize: 0 bytes/workgroup (compile time only)
; SGPRBlocks: 5
; VGPRBlocks: 4
; NumSGPRsForWavesPerEU: 46
; NumVGPRsForWavesPerEU: 34
; AccumOffset: 36
; Occupancy: 8
; WaveLimiterHint : 0
; COMPUTE_PGM_RSRC2:SCRATCH_EN: 0
; COMPUTE_PGM_RSRC2:USER_SGPR: 8
; COMPUTE_PGM_RSRC2:TRAP_HANDLER: 0
; COMPUTE_PGM_RSRC2:TGID_X_EN: 1
; COMPUTE_PGM_RSRC2:TGID_Y_EN: 0
; COMPUTE_PGM_RSRC2:TGID_Z_EN: 0
; COMPUTE_PGM_RSRC2:TIDIG_COMP_CNT: 0
; COMPUTE_PGM_RSRC3_GFX90A:ACCUM_OFFSET: 8
; COMPUTE_PGM_RSRC3_GFX90A:TG_SPLIT: 0
	.section	.text._ZN2at6native29vectorized_elementwise_kernelILi4EZZZNS0_12_GLOBAL__N_119airy_ai_kernel_cudaERNS_18TensorIteratorBaseEENKUlvE_clEvENKUlvE0_clEvEUlfE_St5arrayIPcLm2EEEEviT0_T1_,"axG",@progbits,_ZN2at6native29vectorized_elementwise_kernelILi4EZZZNS0_12_GLOBAL__N_119airy_ai_kernel_cudaERNS_18TensorIteratorBaseEENKUlvE_clEvENKUlvE0_clEvEUlfE_St5arrayIPcLm2EEEEviT0_T1_,comdat
	.globl	_ZN2at6native29vectorized_elementwise_kernelILi4EZZZNS0_12_GLOBAL__N_119airy_ai_kernel_cudaERNS_18TensorIteratorBaseEENKUlvE_clEvENKUlvE0_clEvEUlfE_St5arrayIPcLm2EEEEviT0_T1_ ; -- Begin function _ZN2at6native29vectorized_elementwise_kernelILi4EZZZNS0_12_GLOBAL__N_119airy_ai_kernel_cudaERNS_18TensorIteratorBaseEENKUlvE_clEvENKUlvE0_clEvEUlfE_St5arrayIPcLm2EEEEviT0_T1_
	.p2align	8
	.type	_ZN2at6native29vectorized_elementwise_kernelILi4EZZZNS0_12_GLOBAL__N_119airy_ai_kernel_cudaERNS_18TensorIteratorBaseEENKUlvE_clEvENKUlvE0_clEvEUlfE_St5arrayIPcLm2EEEEviT0_T1_,@function
_ZN2at6native29vectorized_elementwise_kernelILi4EZZZNS0_12_GLOBAL__N_119airy_ai_kernel_cudaERNS_18TensorIteratorBaseEENKUlvE_clEvENKUlvE0_clEvEUlfE_St5arrayIPcLm2EEEEviT0_T1_: ; @_ZN2at6native29vectorized_elementwise_kernelILi4EZZZNS0_12_GLOBAL__N_119airy_ai_kernel_cudaERNS_18TensorIteratorBaseEENKUlvE_clEvENKUlvE0_clEvEUlfE_St5arrayIPcLm2EEEEviT0_T1_
; %bb.0:
	s_add_u32 flat_scratch_lo, s6, s9
	s_load_dword s6, s[4:5], 0x0
	s_load_dwordx4 s[36:39], s[4:5], 0x8
	s_addc_u32 flat_scratch_hi, s7, 0
	s_add_u32 s0, s0, s9
	s_addc_u32 s1, s1, 0
	s_lshl_b32 s4, s8, 10
	s_waitcnt lgkmcnt(0)
	s_sub_i32 s27, s6, s4
	s_mov_b32 s26, s8
	v_mov_b32_e32 v31, v0
	s_cmpk_gt_i32 s27, 0x3ff
	s_mov_b64 s[4:5], -1
	s_mov_b32 s32, 0
	s_cbranch_scc1 .LBB16_3
; %bb.1:
	s_andn2_b64 vcc, exec, s[4:5]
	s_cbranch_vccz .LBB16_4
.LBB16_2:
	s_endpgm
.LBB16_3:
	s_mov_b32 s12, s26
	v_mov_b32_e32 v0, s36
	v_mov_b32_e32 v1, s37
	;; [unrolled: 1-line block ×4, first 2 shown]
	s_getpc_b64 s[4:5]
	s_add_u32 s4, s4, _ZN2at6native25elementwise_kernel_helperILb0EZZZNS0_12_GLOBAL__N_119airy_ai_kernel_cudaERNS_18TensorIteratorBaseEENKUlvE_clEvENKUlvE0_clEvEUlfE_NS0_6memory8policies10vectorizedILi4ESt5arrayIPcLm2EELi4EEEEEvT0_T1_@rel32@lo+4
	s_addc_u32 s5, s5, _ZN2at6native25elementwise_kernel_helperILb0EZZZNS0_12_GLOBAL__N_119airy_ai_kernel_cudaERNS_18TensorIteratorBaseEENKUlvE_clEvENKUlvE0_clEvEUlfE_NS0_6memory8policies10vectorizedILi4ESt5arrayIPcLm2EELi4EEEEEvT0_T1_@rel32@hi+12
	s_swappc_b64 s[30:31], s[4:5]
	s_cbranch_execnz .LBB16_2
.LBB16_4:
	s_mov_b32 s12, s26
	v_mov_b32_e32 v0, s36
	v_mov_b32_e32 v1, s37
	;; [unrolled: 1-line block ×5, first 2 shown]
	s_getpc_b64 s[4:5]
	s_add_u32 s4, s4, _ZN2at6native25elementwise_kernel_helperILb0EZZZNS0_12_GLOBAL__N_119airy_ai_kernel_cudaERNS_18TensorIteratorBaseEENKUlvE_clEvENKUlvE0_clEvEUlfE_NS0_6memory8policies11unroll_baseILi256ESt5arrayIPcLm2EE23TrivialOffsetCalculatorILi1EjESF_NS8_15LoadWithoutCastENS8_16StoreWithoutCastELi4ELi1EEEEEvT0_T1_@rel32@lo+4
	s_addc_u32 s5, s5, _ZN2at6native25elementwise_kernel_helperILb0EZZZNS0_12_GLOBAL__N_119airy_ai_kernel_cudaERNS_18TensorIteratorBaseEENKUlvE_clEvENKUlvE0_clEvEUlfE_NS0_6memory8policies11unroll_baseILi256ESt5arrayIPcLm2EE23TrivialOffsetCalculatorILi1EjESF_NS8_15LoadWithoutCastENS8_16StoreWithoutCastELi4ELi1EEEEEvT0_T1_@rel32@hi+12
	s_swappc_b64 s[30:31], s[4:5]
	s_endpgm
	.section	.rodata,"a",@progbits
	.p2align	6, 0x0
	.amdhsa_kernel _ZN2at6native29vectorized_elementwise_kernelILi4EZZZNS0_12_GLOBAL__N_119airy_ai_kernel_cudaERNS_18TensorIteratorBaseEENKUlvE_clEvENKUlvE0_clEvEUlfE_St5arrayIPcLm2EEEEviT0_T1_
		.amdhsa_group_segment_fixed_size 0
		.amdhsa_private_segment_fixed_size 0
		.amdhsa_kernarg_size 24
		.amdhsa_user_sgpr_count 8
		.amdhsa_user_sgpr_private_segment_buffer 1
		.amdhsa_user_sgpr_dispatch_ptr 0
		.amdhsa_user_sgpr_queue_ptr 0
		.amdhsa_user_sgpr_kernarg_segment_ptr 1
		.amdhsa_user_sgpr_dispatch_id 0
		.amdhsa_user_sgpr_flat_scratch_init 1
		.amdhsa_user_sgpr_kernarg_preload_length 0
		.amdhsa_user_sgpr_kernarg_preload_offset 0
		.amdhsa_user_sgpr_private_segment_size 0
		.amdhsa_uses_dynamic_stack 0
		.amdhsa_system_sgpr_private_segment_wavefront_offset 0
		.amdhsa_system_sgpr_workgroup_id_x 1
		.amdhsa_system_sgpr_workgroup_id_y 0
		.amdhsa_system_sgpr_workgroup_id_z 0
		.amdhsa_system_sgpr_workgroup_info 0
		.amdhsa_system_vgpr_workitem_id 0
		.amdhsa_next_free_vgpr 34
		.amdhsa_next_free_sgpr 40
		.amdhsa_accum_offset 36
		.amdhsa_reserve_vcc 1
		.amdhsa_reserve_flat_scratch 1
		.amdhsa_float_round_mode_32 0
		.amdhsa_float_round_mode_16_64 0
		.amdhsa_float_denorm_mode_32 3
		.amdhsa_float_denorm_mode_16_64 3
		.amdhsa_dx10_clamp 1
		.amdhsa_ieee_mode 1
		.amdhsa_fp16_overflow 0
		.amdhsa_tg_split 0
		.amdhsa_exception_fp_ieee_invalid_op 0
		.amdhsa_exception_fp_denorm_src 0
		.amdhsa_exception_fp_ieee_div_zero 0
		.amdhsa_exception_fp_ieee_overflow 0
		.amdhsa_exception_fp_ieee_underflow 0
		.amdhsa_exception_fp_ieee_inexact 0
		.amdhsa_exception_int_div_zero 0
	.end_amdhsa_kernel
	.section	.text._ZN2at6native29vectorized_elementwise_kernelILi4EZZZNS0_12_GLOBAL__N_119airy_ai_kernel_cudaERNS_18TensorIteratorBaseEENKUlvE_clEvENKUlvE0_clEvEUlfE_St5arrayIPcLm2EEEEviT0_T1_,"axG",@progbits,_ZN2at6native29vectorized_elementwise_kernelILi4EZZZNS0_12_GLOBAL__N_119airy_ai_kernel_cudaERNS_18TensorIteratorBaseEENKUlvE_clEvENKUlvE0_clEvEUlfE_St5arrayIPcLm2EEEEviT0_T1_,comdat
.Lfunc_end16:
	.size	_ZN2at6native29vectorized_elementwise_kernelILi4EZZZNS0_12_GLOBAL__N_119airy_ai_kernel_cudaERNS_18TensorIteratorBaseEENKUlvE_clEvENKUlvE0_clEvEUlfE_St5arrayIPcLm2EEEEviT0_T1_, .Lfunc_end16-_ZN2at6native29vectorized_elementwise_kernelILi4EZZZNS0_12_GLOBAL__N_119airy_ai_kernel_cudaERNS_18TensorIteratorBaseEENKUlvE_clEvENKUlvE0_clEvEUlfE_St5arrayIPcLm2EEEEviT0_T1_
                                        ; -- End function
	.section	.AMDGPU.csdata,"",@progbits
; Kernel info:
; codeLenInByte = 180
; NumSgprs: 46
; NumVgprs: 34
; NumAgprs: 0
; TotalNumVgprs: 34
; ScratchSize: 0
; MemoryBound: 0
; FloatMode: 240
; IeeeMode: 1
; LDSByteSize: 0 bytes/workgroup (compile time only)
; SGPRBlocks: 5
; VGPRBlocks: 4
; NumSGPRsForWavesPerEU: 46
; NumVGPRsForWavesPerEU: 34
; AccumOffset: 36
; Occupancy: 8
; WaveLimiterHint : 0
; COMPUTE_PGM_RSRC2:SCRATCH_EN: 0
; COMPUTE_PGM_RSRC2:USER_SGPR: 8
; COMPUTE_PGM_RSRC2:TRAP_HANDLER: 0
; COMPUTE_PGM_RSRC2:TGID_X_EN: 1
; COMPUTE_PGM_RSRC2:TGID_Y_EN: 0
; COMPUTE_PGM_RSRC2:TGID_Z_EN: 0
; COMPUTE_PGM_RSRC2:TIDIG_COMP_CNT: 0
; COMPUTE_PGM_RSRC3_GFX90A:ACCUM_OFFSET: 8
; COMPUTE_PGM_RSRC3_GFX90A:TG_SPLIT: 0
	.section	.text._ZN2at6native29vectorized_elementwise_kernelILi2EZZZNS0_12_GLOBAL__N_119airy_ai_kernel_cudaERNS_18TensorIteratorBaseEENKUlvE_clEvENKUlvE0_clEvEUlfE_St5arrayIPcLm2EEEEviT0_T1_,"axG",@progbits,_ZN2at6native29vectorized_elementwise_kernelILi2EZZZNS0_12_GLOBAL__N_119airy_ai_kernel_cudaERNS_18TensorIteratorBaseEENKUlvE_clEvENKUlvE0_clEvEUlfE_St5arrayIPcLm2EEEEviT0_T1_,comdat
	.globl	_ZN2at6native29vectorized_elementwise_kernelILi2EZZZNS0_12_GLOBAL__N_119airy_ai_kernel_cudaERNS_18TensorIteratorBaseEENKUlvE_clEvENKUlvE0_clEvEUlfE_St5arrayIPcLm2EEEEviT0_T1_ ; -- Begin function _ZN2at6native29vectorized_elementwise_kernelILi2EZZZNS0_12_GLOBAL__N_119airy_ai_kernel_cudaERNS_18TensorIteratorBaseEENKUlvE_clEvENKUlvE0_clEvEUlfE_St5arrayIPcLm2EEEEviT0_T1_
	.p2align	8
	.type	_ZN2at6native29vectorized_elementwise_kernelILi2EZZZNS0_12_GLOBAL__N_119airy_ai_kernel_cudaERNS_18TensorIteratorBaseEENKUlvE_clEvENKUlvE0_clEvEUlfE_St5arrayIPcLm2EEEEviT0_T1_,@function
_ZN2at6native29vectorized_elementwise_kernelILi2EZZZNS0_12_GLOBAL__N_119airy_ai_kernel_cudaERNS_18TensorIteratorBaseEENKUlvE_clEvENKUlvE0_clEvEUlfE_St5arrayIPcLm2EEEEviT0_T1_: ; @_ZN2at6native29vectorized_elementwise_kernelILi2EZZZNS0_12_GLOBAL__N_119airy_ai_kernel_cudaERNS_18TensorIteratorBaseEENKUlvE_clEvENKUlvE0_clEvEUlfE_St5arrayIPcLm2EEEEviT0_T1_
; %bb.0:
	s_add_u32 flat_scratch_lo, s6, s9
	s_load_dword s6, s[4:5], 0x0
	s_load_dwordx4 s[16:19], s[4:5], 0x8
	s_addc_u32 flat_scratch_hi, s7, 0
	s_add_u32 s0, s0, s9
	s_addc_u32 s1, s1, 0
	s_lshl_b32 s4, s8, 10
	s_waitcnt lgkmcnt(0)
	s_sub_i32 s9, s6, s4
	s_cmpk_gt_i32 s9, 0x3ff
	s_mov_b64 s[6:7], -1
	s_mov_b32 s32, 0
	s_cbranch_scc0 .LBB17_14
; %bb.1:
	s_ashr_i32 s5, s4, 31
	s_lshl_b64 s[12:13], s[4:5], 2
	s_add_u32 s4, s18, s12
	s_addc_u32 s5, s19, s13
	v_lshlrev_b32_e32 v1, 3, v0
	global_load_dwordx2 v[6:7], v1, s[4:5]
	global_load_dwordx2 v[4:5], v1, s[4:5] offset:2048
	s_mov_b32 s28, 0x7f800000
	v_mov_b32_e32 v14, 0
	v_mov_b32_e32 v3, 0x7fc00000
	;; [unrolled: 1-line block ×3, first 2 shown]
	s_waitcnt vmcnt(1)
	v_cmp_neq_f32_e64 s[4:5], |v6|, s28
	s_and_saveexec_b64 s[14:15], s[4:5]
	s_cbranch_execz .LBB17_25
; %bb.2:
	s_mov_b32 s4, 0x42cfc8b4
	v_cmp_nlt_f32_e32 vcc, s4, v6
	s_and_saveexec_b64 s[20:21], vcc
	s_cbranch_execz .LBB17_24
; %bb.3:
	s_mov_b32 s4, 0xc005c28f
	v_cmp_ngt_f32_e32 vcc, s4, v6
                                        ; implicit-def: $vgpr14
	s_and_saveexec_b64 s[4:5], vcc
	s_xor_b64 s[6:7], exec, s[4:5]
	s_cbranch_execz .LBB17_11
; %bb.4:
	s_mov_b32 s4, 0x4005c28f
	v_cmp_nle_f32_e64 s[10:11], s4, v6
	v_cmp_le_f32_e32 vcc, s4, v6
	v_mov_b32_e32 v14, 0
	s_mov_b64 s[4:5], s[10:11]
	s_and_saveexec_b64 s[22:23], vcc
	s_cbranch_execz .LBB17_6
; %bb.5:
	s_mov_b32 s24, 0xf800000
	v_mul_f32_e32 v2, 0x4f800000, v6
	v_cmp_gt_f32_e32 vcc, s24, v6
	v_cndmask_b32_e32 v2, v6, v2, vcc
	v_sqrt_f32_e32 v8, v2
	v_add_f32_e32 v9, v6, v6
	s_mov_b32 s25, 0x40400000
	v_add_u32_e32 v10, -1, v8
	v_fma_f32 v11, -v10, v8, v2
	v_cmp_ge_f32_e64 s[4:5], 0, v11
	v_add_u32_e32 v11, 1, v8
	v_cndmask_b32_e64 v10, v8, v10, s[4:5]
	v_fma_f32 v8, -v11, v8, v2
	v_cmp_lt_f32_e64 s[4:5], 0, v8
	v_cndmask_b32_e64 v8, v10, v11, s[4:5]
	v_mul_f32_e32 v10, 0x37800000, v8
	v_cndmask_b32_e32 v8, v8, v10, vcc
	v_mov_b32_e32 v10, 0x260
	v_cmp_class_f32_e32 vcc, v2, v10
	v_cndmask_b32_e32 v2, v8, v2, vcc
	v_mul_f32_e32 v8, v9, v2
	v_div_scale_f32 v9, s[4:5], s25, s25, v8
	v_rcp_f32_e32 v11, v9
	v_fma_f32 v12, -v9, v11, 1.0
	v_fmac_f32_e32 v11, v12, v11
	v_div_scale_f32 v12, vcc, v8, s25, v8
	v_mul_f32_e32 v13, v12, v11
	v_fma_f32 v14, -v9, v13, v12
	v_fmac_f32_e32 v13, v14, v11
	v_fma_f32 v9, -v9, v13, v12
	v_div_fmas_f32 v9, v9, v11, v13
	v_div_fixup_f32 v11, v9, s25, v8
	v_div_scale_f32 v8, s[4:5], v11, v11, 1.0
	v_rcp_f32_e32 v9, v8
	v_fma_f32 v12, -v8, v9, 1.0
	v_fmac_f32_e32 v9, v12, v9
	v_div_scale_f32 v12, vcc, 1.0, v11, 1.0
	v_mul_f32_e32 v13, v12, v9
	v_fma_f32 v14, -v8, v13, v12
	v_fmac_f32_e32 v13, v14, v9
	v_fma_f32 v8, -v8, v13, v12
	v_div_fmas_f32 v8, v8, v9, v13
	v_div_fixup_f32 v8, v8, v11, 1.0
	v_mov_b32_e32 v9, 0x3eb16d71
	v_fmac_f32_e32 v9, 0, v8
	v_mov_b32_e32 v12, 0x41401f1c
	v_fmac_f32_e32 v12, v8, v9
	v_mov_b32_e32 v9, 0x42988f28
	v_fmac_f32_e32 v9, v8, v12
	v_mov_b32_e32 v12, 0x432816d7
	v_fmac_f32_e32 v12, v8, v9
	v_mov_b32_e32 v9, 0x431fc1a3
	v_fmac_f32_e32 v9, v8, v12
	v_mov_b32_e32 v12, 0x428d127a
	v_fmac_f32_e32 v12, v8, v9
	v_mov_b32_e32 v9, 0x41606c6b
	v_fmac_f32_e32 v9, v8, v12
	v_mov_b32_e32 v12, 0x3f114de0
	v_fmac_f32_e32 v12, 0, v8
	v_mov_b32_e32 v13, 0x416c19a0
	v_fmac_f32_e32 v13, v8, v12
	v_mov_b32_e32 v12, 0x42a9071e
	v_fmac_f32_e32 v12, v8, v13
	v_mov_b32_e32 v13, 0x4331516e
	v_fmac_f32_e32 v13, v8, v12
	v_mov_b32_e32 v12, 0x43243c15
	v_fmac_f32_e32 v12, v8, v13
	v_mov_b32_e32 v13, 0x428ef4a7
	v_fmac_f32_e32 v13, v8, v12
	v_mov_b32_e32 v12, 0x416188dd
	v_fmac_f32_e32 v12, v8, v13
	v_fma_f32 v12, v8, v12, 1.0
	v_fma_f32 v8, v8, v9, 1.0
	v_div_scale_f32 v9, s[4:5], v12, v12, v8
	v_rcp_f32_e32 v13, v9
	v_cmp_gt_f32_e64 s[4:5], s24, v2
	v_fma_f32 v14, -v9, v13, 1.0
	v_fmac_f32_e32 v13, v14, v13
	v_div_scale_f32 v14, vcc, v8, v12, v8
	v_mul_f32_e32 v15, v14, v13
	v_fma_f32 v16, -v9, v15, v14
	v_fmac_f32_e32 v15, v16, v13
	v_fma_f32 v9, -v9, v15, v14
	v_mul_f32_e32 v14, 0x4f800000, v2
	v_cndmask_b32_e64 v2, v2, v14, s[4:5]
	v_sqrt_f32_e32 v14, v2
	v_div_fmas_f32 v9, v9, v13, v15
	v_div_fixup_f32 v8, v9, v12, v8
	v_add_u32_e32 v9, -1, v14
	v_fma_f32 v12, -v9, v14, v2
	v_cmp_ge_f32_e32 vcc, 0, v12
	v_add_u32_e32 v12, 1, v14
	v_fma_f32 v13, -v12, v14, v2
	v_cndmask_b32_e32 v9, v14, v9, vcc
	v_cmp_lt_f32_e32 vcc, 0, v13
	v_cndmask_b32_e32 v9, v9, v12, vcc
	v_mul_f32_e32 v12, 0x37800000, v9
	v_cndmask_b32_e64 v9, v9, v12, s[4:5]
	v_cmp_class_f32_e32 vcc, v2, v10
	v_cndmask_b32_e32 v9, v9, v2, vcc
	s_mov_b32 s4, 0x3fb8aa3b
	v_mul_f32_e32 v2, 0x3fb8aa3b, v11
	v_fma_f32 v10, v11, s4, -v2
	v_rndne_f32_e32 v12, v2
	v_fmac_f32_e32 v10, 0x32a5705f, v11
	v_sub_f32_e32 v2, v2, v12
	v_add_f32_e32 v2, v2, v10
	v_exp_f32_e32 v2, v2
	v_cvt_i32_f32_e32 v10, v12
	s_mov_b32 s4, 0x3f106ebb
	s_mov_b32 s5, 2.0
	v_pk_mul_f32 v[8:9], v[8:9], s[4:5]
	s_mov_b32 s4, 0xc2ce8ed0
	v_ldexp_f32 v2, v2, v10
	v_cmp_ngt_f32_e32 vcc, s4, v11
	s_mov_b32 s4, 0x42b17218
	v_cndmask_b32_e32 v2, 0, v2, vcc
	v_mov_b32_e32 v10, 0x7f800000
	v_cmp_nlt_f32_e32 vcc, s4, v11
	v_cndmask_b32_e32 v2, v10, v2, vcc
	v_mul_f32_e32 v2, v9, v2
	v_div_scale_f32 v9, s[4:5], v2, v2, v8
	v_rcp_f32_e32 v10, v9
	s_mov_b32 s4, 0x41052018
	v_fma_f32 v11, -v9, v10, 1.0
	v_fmac_f32_e32 v10, v11, v10
	v_div_scale_f32 v11, vcc, v8, v2, v8
	v_mul_f32_e32 v12, v11, v10
	v_fma_f32 v13, -v9, v12, v11
	v_fmac_f32_e32 v12, v13, v10
	v_fma_f32 v9, -v9, v12, v11
	v_div_fmas_f32 v9, v9, v10, v12
	v_cmp_nlt_f32_e32 vcc, s4, v6
	s_andn2_b64 s[4:5], s[10:11], exec
	s_and_b64 s[24:25], vcc, exec
	v_div_fixup_f32 v14, v9, v2, v8
	s_or_b64 s[4:5], s[4:5], s[24:25]
.LBB17_6:
	s_or_b64 exec, exec, s[22:23]
	s_and_saveexec_b64 s[22:23], s[4:5]
	s_cbranch_execz .LBB17_10
; %bb.7:
	v_mul_f32_e32 v2, v6, v6
	v_mul_f32_e32 v8, v6, v2
	v_mov_b32_e32 v9, v8
	s_mov_b64 s[24:25], 0
	v_mov_b32_e32 v2, 1.0
	s_brev_b32 s26, 44
	v_mov_b32_e32 v10, 1.0
	v_mov_b32_e32 v11, v6
	v_mov_b32_e32 v12, 1.0
	v_mov_b32_e32 v13, v6
.LBB17_8:                               ; =>This Inner Loop Header: Depth=1
	v_pk_mul_f32 v[12:13], v[8:9], v[12:13]
	v_add_f32_e32 v15, 1.0, v2
	v_add_f32_e32 v16, 1.0, v15
	v_div_scale_f32 v17, s[4:5], v15, v15, v12
	v_rcp_f32_e32 v19, v17
	v_div_scale_f32 v20, s[4:5], v16, v16, v13
	v_rcp_f32_e32 v22, v20
	v_fma_f32 v23, -v17, v19, 1.0
	v_div_scale_f32 v18, vcc, v12, v15, v12
	v_fmac_f32_e32 v19, v23, v19
	v_fma_f32 v23, -v20, v22, 1.0
	v_div_scale_f32 v21, s[4:5], v13, v16, v13
	v_mul_f32_e32 v24, v18, v19
	v_fmac_f32_e32 v22, v23, v22
	v_fma_f32 v23, -v17, v24, v18
	v_mul_f32_e32 v25, v21, v22
	v_fmac_f32_e32 v24, v23, v19
	v_fma_f32 v23, -v20, v25, v21
	v_fma_f32 v17, -v17, v24, v18
	v_fmac_f32_e32 v25, v23, v22
	v_div_fmas_f32 v17, v17, v19, v24
	v_fma_f32 v18, -v20, v25, v21
	s_mov_b64 vcc, s[4:5]
	v_div_fixup_f32 v12, v17, v15, v12
	v_div_fmas_f32 v15, v18, v22, v25
	v_add_f32_e32 v2, 1.0, v16
	v_div_fixup_f32 v13, v15, v16, v13
	v_div_scale_f32 v15, s[4:5], v16, v16, v12
	v_div_scale_f32 v18, s[30:31], v2, v2, v13
	v_rcp_f32_e32 v20, v15
	v_rcp_f32_e32 v21, v18
	v_div_scale_f32 v17, s[4:5], v12, v16, v12
	v_fma_f32 v22, -v15, v20, 1.0
	v_fma_f32 v23, -v18, v21, 1.0
	v_div_scale_f32 v19, vcc, v13, v2, v13
	v_fmac_f32_e32 v20, v22, v20
	v_fmac_f32_e32 v21, v23, v21
	v_mul_f32_e32 v22, v17, v20
	v_mul_f32_e32 v23, v19, v21
	v_fma_f32 v24, -v15, v22, v17
	v_fma_f32 v25, -v18, v23, v19
	v_fmac_f32_e32 v22, v24, v20
	v_fmac_f32_e32 v23, v25, v21
	v_fma_f32 v15, -v15, v22, v17
	v_fma_f32 v17, -v18, v23, v19
	v_div_fmas_f32 v17, v17, v21, v23
	s_mov_b64 vcc, s[4:5]
	v_div_fmas_f32 v15, v15, v20, v22
	v_div_fixup_f32 v13, v17, v2, v13
	v_div_fixup_f32 v12, v15, v16, v12
	v_pk_add_f32 v[10:11], v[10:11], v[12:13]
	v_div_scale_f32 v15, s[4:5], v10, v10, v12
	v_rcp_f32_e32 v16, v15
	v_div_scale_f32 v17, vcc, v12, v10, v12
	v_fma_f32 v18, -v15, v16, 1.0
	v_fmac_f32_e32 v16, v18, v16
	v_mul_f32_e32 v18, v17, v16
	v_fma_f32 v19, -v15, v18, v17
	v_fmac_f32_e32 v18, v19, v16
	v_fma_f32 v15, -v15, v18, v17
	v_div_fmas_f32 v15, v15, v16, v18
	v_div_fixup_f32 v15, v15, v10, v12
	v_cmp_ngt_f32_e64 s[4:5], |v15|, s26
	s_or_b64 s[24:25], s[4:5], s[24:25]
	s_andn2_b64 exec, exec, s[24:25]
	s_cbranch_execnz .LBB17_8
; %bb.9:
	s_or_b64 exec, exec, s[24:25]
	s_mov_b32 s4, 0x3eb5c63d
	s_mov_b32 s5, 0x3e8483fa
	v_pk_mul_f32 v[8:9], v[10:11], s[4:5]
	v_sub_f32_e32 v2, v8, v9
	v_cndmask_b32_e64 v14, v14, v2, s[10:11]
.LBB17_10:
	s_or_b64 exec, exec, s[22:23]
.LBB17_11:
	s_andn2_saveexec_b64 s[22:23], s[6:7]
	s_cbranch_execz .LBB17_23
; %bb.12:
	s_mov_b32 s4, 0x8f800000
	v_mul_f32_e32 v2, 0xcf800000, v6
	v_cmp_lt_f32_e32 vcc, s4, v6
	v_cndmask_b32_e64 v2, -v6, v2, vcc
	v_sqrt_f32_e32 v8, v2
	v_mul_f32_e32 v6, -2.0, v6
	s_mov_b32 s6, 0x40400000
	v_add_u32_e32 v9, -1, v8
	v_fma_f32 v10, -v9, v8, v2
	v_cmp_ge_f32_e64 s[4:5], 0, v10
	v_add_u32_e32 v10, 1, v8
	v_cndmask_b32_e64 v9, v8, v9, s[4:5]
	v_fma_f32 v8, -v10, v8, v2
	v_cmp_lt_f32_e64 s[4:5], 0, v8
	v_cndmask_b32_e64 v8, v9, v10, s[4:5]
	v_mul_f32_e32 v9, 0x37800000, v8
	v_cndmask_b32_e32 v8, v8, v9, vcc
	v_mov_b32_e32 v9, 0x260
	v_cmp_class_f32_e32 vcc, v2, v9
	v_cndmask_b32_e32 v2, v8, v2, vcc
	v_mul_f32_e32 v6, v6, v2
	v_div_scale_f32 v8, s[4:5], s6, s6, v6
	v_rcp_f32_e32 v9, v8
	s_brev_b32 s4, 18
	v_fma_f32 v10, -v8, v9, 1.0
	v_fmac_f32_e32 v9, v10, v9
	v_div_scale_f32 v10, vcc, v6, s6, v6
	v_mul_f32_e32 v11, v10, v9
	v_fma_f32 v12, -v8, v11, v10
	v_fmac_f32_e32 v11, v12, v9
	v_fma_f32 v8, -v8, v11, v10
	v_div_fmas_f32 v8, v8, v9, v11
	v_div_fixup_f32 v9, v8, s6, v6
	v_add_f32_e32 v6, 0x3f490fdb, v9
	v_and_b32_e32 v8, 0x7fffffff, v6
	v_cmp_nlt_f32_e64 s[24:25], |v6|, s4
	v_lshrrev_b32_e32 v14, 23, v8
                                        ; implicit-def: $vgpr10
                                        ; implicit-def: $vgpr11
	s_and_saveexec_b64 s[4:5], s[24:25]
	s_xor_b64 s[26:27], exec, s[4:5]
	s_cbranch_execz .LBB17_16
; %bb.13:
	v_add_u32_e32 v10, 0xffffff88, v14
	v_not_b32_e32 v12, 63
	v_cmp_lt_u32_e32 vcc, 63, v10
	v_cndmask_b32_e32 v12, 0, v12, vcc
	v_add_u32_e32 v10, v12, v10
	v_not_b32_e32 v12, 31
	v_cmp_lt_u32_e64 s[4:5], 31, v10
	v_cndmask_b32_e64 v13, 0, v12, s[4:5]
	v_add_u32_e32 v10, v13, v10
	v_cmp_lt_u32_e64 s[6:7], 31, v10
	v_cndmask_b32_e64 v12, 0, v12, s[6:7]
	v_add_u32_e32 v15, v12, v10
	v_and_b32_e32 v10, 0x7fffff, v8
	v_or_b32_e32 v26, 0x800000, v10
	s_mov_b32 s10, 0xfe5163ab
	v_mad_u64_u32 v[12:13], s[10:11], v26, s10, 0
	v_mov_b32_e32 v11, 0
	v_mov_b32_e32 v10, v13
	s_mov_b32 s10, 0x3c439041
	v_mad_u64_u32 v[16:17], s[10:11], v26, s10, v[10:11]
	v_mov_b32_e32 v10, v17
	s_mov_b32 s10, 0xdb629599
	v_mad_u64_u32 v[18:19], s[10:11], v26, s10, v[10:11]
	;; [unrolled: 3-line block ×6, first 2 shown]
	v_cndmask_b32_e32 v13, v24, v20, vcc
	v_cndmask_b32_e32 v10, v10, v22, vcc
	;; [unrolled: 1-line block ×3, first 2 shown]
	v_cndmask_b32_e64 v17, v10, v13, s[4:5]
	v_cndmask_b32_e64 v10, v11, v10, s[4:5]
	v_cndmask_b32_e32 v11, v22, v18, vcc
	v_cndmask_b32_e64 v13, v13, v11, s[4:5]
	v_sub_u32_e32 v19, 32, v15
	v_cmp_eq_u32_e64 s[10:11], 0, v15
	v_cndmask_b32_e32 v15, v20, v16, vcc
	v_cndmask_b32_e64 v10, v10, v17, s[6:7]
	v_cndmask_b32_e64 v17, v17, v13, s[6:7]
	;; [unrolled: 1-line block ×3, first 2 shown]
	v_alignbit_b32 v21, v10, v17, v19
	v_cndmask_b32_e64 v13, v13, v11, s[6:7]
	v_cndmask_b32_e64 v10, v21, v10, s[10:11]
	v_alignbit_b32 v16, v17, v13, v19
	v_cndmask_b32_e64 v16, v16, v17, s[10:11]
	v_bfe_u32 v21, v10, 29, 1
	v_cndmask_b32_e32 v12, v18, v12, vcc
	v_alignbit_b32 v17, v10, v16, 30
	v_sub_u32_e32 v22, 0, v21
	v_cndmask_b32_e64 v12, v15, v12, s[4:5]
	v_xor_b32_e32 v23, v17, v22
	v_cndmask_b32_e64 v11, v11, v12, s[6:7]
	v_alignbit_b32 v12, v13, v11, v19
	v_ffbh_u32_e32 v15, v23
	v_cndmask_b32_e64 v12, v12, v13, s[10:11]
	v_add_u32_e32 v15, 1, v15
	v_cmp_ne_u32_e32 vcc, v17, v22
	v_alignbit_b32 v13, v16, v12, 30
	v_cndmask_b32_e32 v15, 33, v15, vcc
	v_alignbit_b32 v11, v12, v11, 30
	v_xor_b32_e32 v13, v13, v22
	v_sub_u32_e32 v16, 32, v15
	v_xor_b32_e32 v11, v11, v22
	v_alignbit_b32 v17, v23, v13, v16
	v_alignbit_b32 v11, v13, v11, v16
	v_alignbit_b32 v12, v17, v11, 9
	v_ffbh_u32_e32 v13, v12
	v_min_u32_e32 v13, 32, v13
	v_lshrrev_b32_e32 v20, 29, v10
	v_sub_u32_e32 v16, 31, v13
	v_alignbit_b32 v11, v12, v11, v16
	v_lshlrev_b32_e32 v12, 31, v20
	v_or_b32_e32 v16, 0x33800000, v12
	v_add_lshl_u32 v13, v13, v15, 23
	v_lshrrev_b32_e32 v11, 9, v11
	v_sub_u32_e32 v13, v16, v13
	v_or_b32_e32 v11, v13, v11
	v_alignbit_b32 v13, v15, v17, 9
	v_or_b32_e32 v12, v13, v12
	v_xor_b32_e32 v12, 1.0, v12
	s_mov_b32 s4, 0x3fc90fda
	v_mul_f32_e32 v13, 0x3fc90fda, v12
	v_fma_f32 v15, v12, s4, -v13
	v_fmac_f32_e32 v15, 0x33a22168, v12
	v_fmac_f32_e32 v15, 0x3fc90fda, v11
	v_lshrrev_b32_e32 v10, 30, v10
	v_add_f32_e32 v11, v13, v15
	v_add_u32_e32 v10, v21, v10
	s_andn2_saveexec_b64 s[4:5], s[26:27]
	s_branch .LBB17_17
.LBB17_14:
	s_and_b64 vcc, exec, s[6:7]
	s_cbranch_vccz .LBB17_92
; %bb.15:
	s_mov_b32 s12, s8
	v_mov_b32_e32 v31, v0
	v_mov_b32_e32 v0, s16
	;; [unrolled: 1-line block ×6, first 2 shown]
	s_getpc_b64 s[4:5]
	s_add_u32 s4, s4, _ZN2at6native25elementwise_kernel_helperILb0EZZZNS0_12_GLOBAL__N_119airy_ai_kernel_cudaERNS_18TensorIteratorBaseEENKUlvE_clEvENKUlvE0_clEvEUlfE_NS0_6memory8policies11unroll_baseILi256ESt5arrayIPcLm2EE23TrivialOffsetCalculatorILi1EjESF_NS8_15LoadWithoutCastENS8_16StoreWithoutCastELi4ELi1EEEEEvT0_T1_@rel32@lo+4
	s_addc_u32 s5, s5, _ZN2at6native25elementwise_kernel_helperILb0EZZZNS0_12_GLOBAL__N_119airy_ai_kernel_cudaERNS_18TensorIteratorBaseEENKUlvE_clEvENKUlvE0_clEvEUlfE_NS0_6memory8policies11unroll_baseILi256ESt5arrayIPcLm2EE23TrivialOffsetCalculatorILi1EjESF_NS8_15LoadWithoutCastENS8_16StoreWithoutCastELi4ELi1EEEEEvT0_T1_@rel32@hi+12
	s_swappc_b64 s[30:31], s[4:5]
	s_endpgm
.LBB17_16:
	s_andn2_saveexec_b64 s[4:5], s[26:27]
.LBB17_17:
	s_mov_b32 s6, 0x3f22f983
	v_mul_f32_e64 v10, |v6|, s6
	v_rndne_f32_e32 v12, v10
	s_mov_b32 s6, 0xbfc90fda
	v_cvt_i32_f32_e32 v10, v12
	v_fma_f32 v11, v12, s6, |v6|
	v_fmac_f32_e32 v11, 0xb3a22168, v12
	v_fmac_f32_e32 v11, 0xa7c234c4, v12
; %bb.18:
	s_or_b64 exec, exec, s[4:5]
                                        ; implicit-def: $vgpr12
                                        ; implicit-def: $vgpr13
	s_and_saveexec_b64 s[4:5], s[24:25]
	s_xor_b64 s[24:25], exec, s[4:5]
	s_cbranch_execz .LBB17_20
; %bb.19:
	v_add_u32_e32 v12, 0xffffff88, v14
	v_not_b32_e32 v14, 63
	v_cmp_lt_u32_e32 vcc, 63, v12
	v_cndmask_b32_e32 v14, 0, v14, vcc
	v_add_u32_e32 v12, v14, v12
	v_not_b32_e32 v14, 31
	v_cmp_lt_u32_e64 s[4:5], 31, v12
	v_cndmask_b32_e64 v15, 0, v14, s[4:5]
	v_add_u32_e32 v12, v15, v12
	v_cmp_lt_u32_e64 s[6:7], 31, v12
	v_cndmask_b32_e64 v14, 0, v14, s[6:7]
	v_add_u32_e32 v26, v14, v12
	v_and_b32_e32 v12, 0x7fffff, v8
	v_or_b32_e32 v27, 0x800000, v12
	s_mov_b32 s10, 0xfe5163ab
	v_mad_u64_u32 v[14:15], s[10:11], v27, s10, 0
	v_mov_b32_e32 v13, 0
	v_mov_b32_e32 v12, v15
	s_mov_b32 s10, 0x3c439041
	v_mad_u64_u32 v[16:17], s[10:11], v27, s10, v[12:13]
	v_mov_b32_e32 v12, v17
	s_mov_b32 s10, 0xdb629599
	v_mad_u64_u32 v[18:19], s[10:11], v27, s10, v[12:13]
	;; [unrolled: 3-line block ×6, first 2 shown]
	v_cndmask_b32_e32 v15, v24, v20, vcc
	v_cndmask_b32_e32 v12, v12, v22, vcc
	;; [unrolled: 1-line block ×3, first 2 shown]
	v_cndmask_b32_e64 v17, v12, v15, s[4:5]
	v_cndmask_b32_e64 v12, v13, v12, s[4:5]
	v_cndmask_b32_e32 v13, v22, v18, vcc
	v_cndmask_b32_e64 v15, v15, v13, s[4:5]
	v_cndmask_b32_e32 v16, v20, v16, vcc
	v_cndmask_b32_e64 v12, v12, v17, s[6:7]
	v_cndmask_b32_e64 v17, v17, v15, s[6:7]
	v_sub_u32_e32 v19, 32, v26
	v_cndmask_b32_e64 v13, v13, v16, s[4:5]
	v_alignbit_b32 v21, v12, v17, v19
	v_cmp_eq_u32_e64 s[10:11], 0, v26
	v_cndmask_b32_e64 v15, v15, v13, s[6:7]
	v_cndmask_b32_e64 v12, v21, v12, s[10:11]
	v_alignbit_b32 v20, v17, v15, v19
	v_cndmask_b32_e64 v17, v20, v17, s[10:11]
	v_bfe_u32 v22, v12, 29, 1
	v_cndmask_b32_e32 v14, v18, v14, vcc
	v_alignbit_b32 v20, v12, v17, 30
	v_sub_u32_e32 v23, 0, v22
	v_cndmask_b32_e64 v14, v16, v14, s[4:5]
	v_xor_b32_e32 v24, v20, v23
	v_cndmask_b32_e64 v13, v13, v14, s[6:7]
	v_alignbit_b32 v14, v15, v13, v19
	v_ffbh_u32_e32 v16, v24
	v_cndmask_b32_e64 v14, v14, v15, s[10:11]
	v_add_u32_e32 v16, 1, v16
	v_cmp_ne_u32_e32 vcc, v20, v23
	v_alignbit_b32 v15, v17, v14, 30
	v_cndmask_b32_e32 v16, 33, v16, vcc
	v_alignbit_b32 v13, v14, v13, 30
	v_xor_b32_e32 v15, v15, v23
	v_sub_u32_e32 v17, 32, v16
	v_xor_b32_e32 v13, v13, v23
	v_alignbit_b32 v18, v24, v15, v17
	v_alignbit_b32 v13, v15, v13, v17
	;; [unrolled: 1-line block ×3, first 2 shown]
	v_ffbh_u32_e32 v15, v14
	v_min_u32_e32 v15, 32, v15
	v_lshrrev_b32_e32 v21, 29, v12
	v_sub_u32_e32 v17, 31, v15
	v_alignbit_b32 v13, v14, v13, v17
	v_lshlrev_b32_e32 v14, 31, v21
	v_or_b32_e32 v17, 0x33800000, v14
	v_add_lshl_u32 v15, v15, v16, 23
	v_lshrrev_b32_e32 v13, 9, v13
	v_sub_u32_e32 v15, v17, v15
	v_or_b32_e32 v13, v15, v13
	v_alignbit_b32 v15, v16, v18, 9
	v_or_b32_e32 v14, v15, v14
	v_xor_b32_e32 v14, 1.0, v14
	s_mov_b32 s4, 0x3fc90fda
	v_mul_f32_e32 v15, 0x3fc90fda, v14
	v_fma_f32 v16, v14, s4, -v15
	v_fmac_f32_e32 v16, 0x33a22168, v14
	v_fmac_f32_e32 v16, 0x3fc90fda, v13
	v_lshrrev_b32_e32 v12, 30, v12
	v_add_f32_e32 v13, v15, v16
	v_add_u32_e32 v12, v22, v12
	s_andn2_saveexec_b64 s[4:5], s[24:25]
	s_cbranch_execnz .LBB17_21
	s_branch .LBB17_22
.LBB17_20:
	s_andn2_saveexec_b64 s[4:5], s[24:25]
.LBB17_21:
	s_mov_b32 s6, 0x3f22f983
	v_mul_f32_e64 v12, |v6|, s6
	v_rndne_f32_e32 v14, v12
	s_mov_b32 s6, 0xbfc90fda
	v_cvt_i32_f32_e32 v12, v14
	v_fma_f32 v13, v14, s6, |v6|
	v_fmac_f32_e32 v13, 0xb3a22168, v14
	v_fmac_f32_e32 v13, 0xa7c234c4, v14
.LBB17_22:
	s_or_b64 exec, exec, s[4:5]
	v_div_scale_f32 v14, s[4:5], v9, v9, 1.0
	v_rcp_f32_e32 v15, v14
	v_div_scale_f32 v16, vcc, 1.0, v9, 1.0
	v_mov_b32_e32 v21, 0xbab64f3b
	v_fma_f32 v17, -v14, v15, 1.0
	v_fmac_f32_e32 v15, v17, v15
	v_mul_f32_e32 v17, v16, v15
	v_fma_f32 v18, -v14, v17, v16
	v_fmac_f32_e32 v17, v18, v15
	v_fma_f32 v14, -v14, v17, v16
	v_div_fmas_f32 v14, v14, v15, v17
	v_div_fixup_f32 v9, v14, v9, 1.0
	v_mul_f32_e32 v14, v9, v9
	v_mov_b32_e32 v15, 0xbe06db67
	v_fmac_f32_e32 v15, 0, v14
	v_mov_b32_e32 v16, 0xbf205f75
	v_fmac_f32_e32 v16, v14, v15
	;; [unrolled: 2-line block ×18, first 2 shown]
	v_mul_f32_e32 v16, v11, v11
	v_mov_b32_e32 v19, 0x3c0881c4
	v_fmac_f32_e32 v21, 0x37d75334, v16
	v_mov_b32_e32 v22, 0x3d2aabf7
	v_fmac_f32_e32 v19, 0xb94c1982, v16
	v_mov_b32_e32 v20, 0xbe2aaa9d
	v_fma_f32 v21, v16, v21, v22
	v_mov_b32_e32 v23, 0xbf000004
	v_fma_f32 v19, v16, v19, v20
	v_fma_f32 v21, v16, v21, v23
	v_mul_f32_e32 v19, v16, v19
	v_fma_f32 v16, v16, v21, 1.0
	v_and_b32_e32 v21, 1, v10
	v_lshlrev_b32_e32 v10, 30, v10
	v_fmac_f32_e32 v11, v11, v19
	v_cmp_eq_u32_e32 vcc, 0, v21
	v_and_b32_e32 v10, 0x80000000, v10
	v_xor_b32_e32 v8, v8, v6
	v_cndmask_b32_e32 v11, v16, v11, vcc
	v_xor_b32_e32 v8, v8, v10
	v_mul_f32_e32 v10, v14, v17
	v_xor_b32_e32 v8, v8, v11
	v_div_scale_f32 v11, s[4:5], v15, v15, v10
	v_rcp_f32_e32 v16, v11
	s_movk_i32 s6, 0x1f8
	v_mov_b32_e32 v17, 0x7fc00000
	v_cmp_class_f32_e64 s[4:5], v6, s6
	v_cndmask_b32_e64 v6, v17, v8, s[4:5]
	v_fma_f32 v8, -v11, v16, 1.0
	v_fmac_f32_e32 v16, v8, v16
	v_div_scale_f32 v8, vcc, v10, v15, v10
	v_mul_f32_e32 v21, v8, v16
	v_fma_f32 v24, -v11, v21, v8
	v_fmac_f32_e32 v21, v24, v16
	v_fma_f32 v8, -v11, v21, v8
	v_div_fmas_f32 v8, v8, v16, v21
	v_div_fixup_f32 v8, v8, v15, v10
	v_mov_b32_e32 v10, 0x3ca1a92f
	v_fmac_f32_e32 v10, 0, v14
	v_mov_b32_e32 v11, 0x3ec83ea8
	v_fmac_f32_e32 v11, v14, v10
	;; [unrolled: 2-line block ×17, first 2 shown]
	v_mov_b32_e32 v11, 0x3b873823
	s_mov_b32 s6, 0xf800000
	v_fmac_f32_e32 v11, v14, v15
	v_mul_f32_e32 v15, 0x4f800000, v2
	v_cmp_gt_f32_e32 vcc, s6, v2
	v_cndmask_b32_e32 v2, v2, v15, vcc
	v_sqrt_f32_e32 v15, v2
	s_mov_b32 s10, 0x3f106ebb
	v_mov_b32_e32 v16, 0x38d45b0f
	v_fmac_f32_e32 v16, v14, v11
	v_add_u32_e32 v21, -1, v15
	v_fma_f32 v24, -v21, v15, v2
	v_cmp_ge_f32_e64 s[6:7], 0, v24
	v_add_u32_e32 v24, 1, v15
	v_cndmask_b32_e64 v21, v15, v21, s[6:7]
	v_fma_f32 v15, -v24, v15, v2
	v_cmp_lt_f32_e64 s[6:7], 0, v15
	v_cndmask_b32_e64 v15, v21, v24, s[6:7]
	v_mul_f32_e32 v21, 0x37800000, v15
	v_cndmask_b32_e32 v15, v15, v21, vcc
	v_mov_b32_e32 v21, 0x260
	v_cmp_class_f32_e32 vcc, v2, v21
	v_cndmask_b32_e32 v2, v15, v2, vcc
	v_div_scale_f32 v15, s[6:7], v2, v2, s10
	v_rcp_f32_e32 v21, v15
	v_mov_b32_e32 v11, 0x359d422f
	v_fmac_f32_e32 v11, v14, v16
	v_mov_b32_e32 v16, 0x31a8fe3a
	v_fmac_f32_e32 v16, v14, v11
	v_fma_f32 v11, -v15, v21, 1.0
	v_fmac_f32_e32 v21, v11, v21
	v_div_scale_f32 v11, vcc, s10, v2, s10
	v_mul_f32_e32 v14, v11, v21
	v_fma_f32 v24, -v15, v14, v11
	v_fmac_f32_e32 v14, v24, v21
	v_fma_f32 v11, -v15, v14, v11
	v_div_fmas_f32 v11, v11, v21, v14
	v_mov_b32_e32 v18, 0x3c0881c4
	v_div_fixup_f32 v2, v11, v2, s10
	v_mul_f32_e32 v11, v13, v13
	v_mov_b32_e32 v19, 0xbab64f3b
	v_fmac_f32_e32 v18, 0xb94c1982, v11
	v_fmac_f32_e32 v20, v11, v18
	;; [unrolled: 1-line block ×3, first 2 shown]
	v_mul_f32_e32 v14, v11, v20
	v_fmac_f32_e32 v22, v11, v19
	v_fmac_f32_e32 v13, v13, v14
	;; [unrolled: 1-line block ×3, first 2 shown]
	v_and_b32_e32 v14, 1, v12
	v_mul_f32_e32 v9, v9, v10
	v_fma_f32 v11, v11, v23, 1.0
	v_cmp_eq_u32_e32 vcc, 0, v14
	v_div_scale_f32 v10, s[6:7], v16, v16, v9
	v_cndmask_b32_e64 v11, -v13, v11, vcc
	v_rcp_f32_e32 v13, v10
	v_lshlrev_b32_e32 v12, 30, v12
	v_and_b32_e32 v12, 0x80000000, v12
	v_xor_b32_e32 v11, v12, v11
	v_fma_f32 v12, -v10, v13, 1.0
	v_fmac_f32_e32 v13, v12, v13
	v_div_scale_f32 v12, vcc, v9, v16, v9
	v_mul_f32_e32 v14, v12, v13
	v_fma_f32 v15, -v10, v14, v12
	v_fmac_f32_e32 v14, v15, v13
	v_fma_f32 v10, -v10, v14, v12
	v_div_fmas_f32 v10, v10, v13, v14
	v_cndmask_b32_e64 v11, v17, v11, s[4:5]
	v_div_fixup_f32 v9, v10, v16, v9
	v_add_f32_e32 v8, 1.0, v8
	v_mul_f32_e32 v9, v9, v11
	v_fma_f32 v6, v8, v6, -v9
	v_mul_f32_e32 v14, v2, v6
.LBB17_23:
	s_or_b64 exec, exec, s[22:23]
.LBB17_24:
	s_or_b64 exec, exec, s[20:21]
	v_mov_b32_e32 v2, v14
.LBB17_25:
	s_or_b64 exec, exec, s[14:15]
	v_cmp_neq_f32_e64 s[4:5], |v7|, s28
	s_and_saveexec_b64 s[14:15], s[4:5]
	s_cbranch_execz .LBB17_47
; %bb.26:
	s_mov_b32 s4, 0x42cfc8b4
	v_cmp_nlt_f32_e32 vcc, s4, v7
	v_mov_b32_e32 v3, 0
	s_and_saveexec_b64 s[20:21], vcc
	s_cbranch_execz .LBB17_46
; %bb.27:
	s_mov_b32 s4, 0xc005c28f
	v_cmp_ngt_f32_e32 vcc, s4, v7
	s_and_saveexec_b64 s[4:5], vcc
	s_xor_b64 s[6:7], exec, s[4:5]
	s_cbranch_execz .LBB17_35
; %bb.28:
	s_mov_b32 s4, 0x4005c28f
	v_cmp_nle_f32_e64 s[10:11], s4, v7
	v_cmp_le_f32_e32 vcc, s4, v7
	v_mov_b32_e32 v3, 0
	s_mov_b64 s[4:5], s[10:11]
	s_and_saveexec_b64 s[22:23], vcc
	s_cbranch_execz .LBB17_30
; %bb.29:
	s_mov_b32 s24, 0xf800000
	v_mul_f32_e32 v3, 0x4f800000, v7
	v_cmp_gt_f32_e32 vcc, s24, v7
	v_cndmask_b32_e32 v3, v7, v3, vcc
	v_sqrt_f32_e32 v6, v3
	v_add_f32_e32 v8, v7, v7
	s_mov_b32 s25, 0x40400000
	v_add_u32_e32 v9, -1, v6
	v_fma_f32 v10, -v9, v6, v3
	v_cmp_ge_f32_e64 s[4:5], 0, v10
	v_add_u32_e32 v10, 1, v6
	v_cndmask_b32_e64 v9, v6, v9, s[4:5]
	v_fma_f32 v6, -v10, v6, v3
	v_cmp_lt_f32_e64 s[4:5], 0, v6
	v_cndmask_b32_e64 v6, v9, v10, s[4:5]
	v_mul_f32_e32 v9, 0x37800000, v6
	v_cndmask_b32_e32 v6, v6, v9, vcc
	v_mov_b32_e32 v9, 0x260
	v_cmp_class_f32_e32 vcc, v3, v9
	v_cndmask_b32_e32 v3, v6, v3, vcc
	v_mul_f32_e32 v6, v8, v3
	v_div_scale_f32 v8, s[4:5], s25, s25, v6
	v_rcp_f32_e32 v10, v8
	v_fma_f32 v11, -v8, v10, 1.0
	v_fmac_f32_e32 v10, v11, v10
	v_div_scale_f32 v11, vcc, v6, s25, v6
	v_mul_f32_e32 v12, v11, v10
	v_fma_f32 v13, -v8, v12, v11
	v_fmac_f32_e32 v12, v13, v10
	v_fma_f32 v8, -v8, v12, v11
	v_div_fmas_f32 v8, v8, v10, v12
	v_div_fixup_f32 v6, v8, s25, v6
	v_div_scale_f32 v8, s[4:5], v6, v6, 1.0
	v_rcp_f32_e32 v10, v8
	v_fma_f32 v11, -v8, v10, 1.0
	v_fmac_f32_e32 v10, v11, v10
	v_div_scale_f32 v11, vcc, 1.0, v6, 1.0
	v_mul_f32_e32 v12, v11, v10
	v_fma_f32 v13, -v8, v12, v11
	v_fmac_f32_e32 v12, v13, v10
	v_fma_f32 v8, -v8, v12, v11
	v_div_fmas_f32 v8, v8, v10, v12
	v_div_fixup_f32 v8, v8, v6, 1.0
	v_mov_b32_e32 v10, 0x3eb16d71
	v_fmac_f32_e32 v10, 0, v8
	v_mov_b32_e32 v11, 0x41401f1c
	v_fmac_f32_e32 v11, v8, v10
	;; [unrolled: 2-line block ×14, first 2 shown]
	v_fma_f32 v11, v8, v11, 1.0
	v_fma_f32 v8, v8, v10, 1.0
	v_div_scale_f32 v10, s[4:5], v11, v11, v8
	v_rcp_f32_e32 v12, v10
	v_cmp_gt_f32_e64 s[4:5], s24, v3
	v_fma_f32 v13, -v10, v12, 1.0
	v_fmac_f32_e32 v12, v13, v12
	v_div_scale_f32 v13, vcc, v8, v11, v8
	v_mul_f32_e32 v14, v13, v12
	v_fma_f32 v15, -v10, v14, v13
	v_fmac_f32_e32 v14, v15, v12
	v_fma_f32 v10, -v10, v14, v13
	v_mul_f32_e32 v13, 0x4f800000, v3
	v_cndmask_b32_e64 v3, v3, v13, s[4:5]
	v_sqrt_f32_e32 v13, v3
	v_div_fmas_f32 v10, v10, v12, v14
	v_div_fixup_f32 v8, v10, v11, v8
	v_add_u32_e32 v10, -1, v13
	v_fma_f32 v11, -v10, v13, v3
	v_cmp_ge_f32_e32 vcc, 0, v11
	v_add_u32_e32 v11, 1, v13
	v_fma_f32 v12, -v11, v13, v3
	v_cndmask_b32_e32 v10, v13, v10, vcc
	v_cmp_lt_f32_e32 vcc, 0, v12
	v_cndmask_b32_e32 v10, v10, v11, vcc
	v_mul_f32_e32 v11, 0x37800000, v10
	v_cndmask_b32_e64 v10, v10, v11, s[4:5]
	v_cmp_class_f32_e32 vcc, v3, v9
	v_cndmask_b32_e32 v9, v10, v3, vcc
	s_mov_b32 s4, 0x3fb8aa3b
	v_mul_f32_e32 v3, 0x3fb8aa3b, v6
	v_fma_f32 v10, v6, s4, -v3
	v_rndne_f32_e32 v11, v3
	v_fmac_f32_e32 v10, 0x32a5705f, v6
	v_sub_f32_e32 v3, v3, v11
	v_add_f32_e32 v3, v3, v10
	v_exp_f32_e32 v3, v3
	v_cvt_i32_f32_e32 v10, v11
	s_mov_b32 s4, 0x3f106ebb
	s_mov_b32 s5, 2.0
	v_pk_mul_f32 v[8:9], v[8:9], s[4:5]
	s_mov_b32 s4, 0xc2ce8ed0
	v_ldexp_f32 v3, v3, v10
	v_cmp_ngt_f32_e32 vcc, s4, v6
	s_mov_b32 s4, 0x42b17218
	v_cndmask_b32_e32 v3, 0, v3, vcc
	v_mov_b32_e32 v10, 0x7f800000
	v_cmp_nlt_f32_e32 vcc, s4, v6
	v_cndmask_b32_e32 v3, v10, v3, vcc
	v_mul_f32_e32 v3, v9, v3
	v_div_scale_f32 v6, s[4:5], v3, v3, v8
	v_rcp_f32_e32 v9, v6
	s_mov_b32 s4, 0x41052018
	v_fma_f32 v10, -v6, v9, 1.0
	v_fmac_f32_e32 v9, v10, v9
	v_div_scale_f32 v10, vcc, v8, v3, v8
	v_mul_f32_e32 v11, v10, v9
	v_fma_f32 v12, -v6, v11, v10
	v_fmac_f32_e32 v11, v12, v9
	v_fma_f32 v6, -v6, v11, v10
	v_div_fmas_f32 v6, v6, v9, v11
	v_cmp_nlt_f32_e32 vcc, s4, v7
	s_andn2_b64 s[4:5], s[10:11], exec
	s_and_b64 s[24:25], vcc, exec
	v_div_fixup_f32 v3, v6, v3, v8
	s_or_b64 s[4:5], s[4:5], s[24:25]
.LBB17_30:
	s_or_b64 exec, exec, s[22:23]
	s_and_saveexec_b64 s[22:23], s[4:5]
	s_cbranch_execz .LBB17_34
; %bb.31:
	v_mul_f32_e32 v6, v7, v7
	v_mul_f32_e32 v8, v7, v6
	v_mov_b32_e32 v12, 1.0
	v_mov_b32_e32 v9, v8
	s_mov_b64 s[24:25], 0
	s_brev_b32 s26, 44
	v_mov_b32_e32 v6, v12
	v_mov_b32_e32 v10, 1.0
	v_mov_b32_e32 v11, v7
.LBB17_32:                              ; =>This Inner Loop Header: Depth=1
	v_pk_mul_f32 v[10:11], v[8:9], v[10:11]
	v_add_f32_e32 v13, 1.0, v12
	v_add_f32_e32 v14, 1.0, v13
	v_div_scale_f32 v15, s[4:5], v13, v13, v10
	v_rcp_f32_e32 v17, v15
	v_div_scale_f32 v18, s[4:5], v14, v14, v11
	v_rcp_f32_e32 v20, v18
	v_fma_f32 v21, -v15, v17, 1.0
	v_div_scale_f32 v16, vcc, v10, v13, v10
	v_fmac_f32_e32 v17, v21, v17
	v_fma_f32 v21, -v18, v20, 1.0
	v_div_scale_f32 v19, s[4:5], v11, v14, v11
	v_mul_f32_e32 v22, v16, v17
	v_fmac_f32_e32 v20, v21, v20
	v_fma_f32 v21, -v15, v22, v16
	v_mul_f32_e32 v23, v19, v20
	v_fmac_f32_e32 v22, v21, v17
	v_fma_f32 v21, -v18, v23, v19
	v_fma_f32 v15, -v15, v22, v16
	v_fmac_f32_e32 v23, v21, v20
	v_div_fmas_f32 v15, v15, v17, v22
	v_fma_f32 v16, -v18, v23, v19
	s_mov_b64 vcc, s[4:5]
	v_div_fixup_f32 v10, v15, v13, v10
	v_div_fmas_f32 v13, v16, v20, v23
	v_add_f32_e32 v12, 1.0, v14
	v_div_fixup_f32 v11, v13, v14, v11
	v_div_scale_f32 v13, s[4:5], v14, v14, v10
	v_div_scale_f32 v16, s[28:29], v12, v12, v11
	v_rcp_f32_e32 v18, v13
	v_rcp_f32_e32 v19, v16
	v_div_scale_f32 v15, s[4:5], v10, v14, v10
	v_fma_f32 v20, -v13, v18, 1.0
	v_fma_f32 v21, -v16, v19, 1.0
	v_div_scale_f32 v17, vcc, v11, v12, v11
	v_fmac_f32_e32 v18, v20, v18
	v_fmac_f32_e32 v19, v21, v19
	v_mul_f32_e32 v20, v15, v18
	v_mul_f32_e32 v21, v17, v19
	v_fma_f32 v22, -v13, v20, v15
	v_fma_f32 v23, -v16, v21, v17
	v_fmac_f32_e32 v20, v22, v18
	v_fmac_f32_e32 v21, v23, v19
	v_fma_f32 v13, -v13, v20, v15
	v_fma_f32 v15, -v16, v21, v17
	v_div_fmas_f32 v15, v15, v19, v21
	s_mov_b64 vcc, s[4:5]
	v_div_fmas_f32 v13, v13, v18, v20
	v_div_fixup_f32 v11, v15, v12, v11
	v_div_fixup_f32 v10, v13, v14, v10
	v_pk_add_f32 v[6:7], v[6:7], v[10:11]
	v_div_scale_f32 v13, s[4:5], v6, v6, v10
	v_rcp_f32_e32 v14, v13
	v_div_scale_f32 v15, vcc, v10, v6, v10
	v_fma_f32 v16, -v13, v14, 1.0
	v_fmac_f32_e32 v14, v16, v14
	v_mul_f32_e32 v16, v15, v14
	v_fma_f32 v17, -v13, v16, v15
	v_fmac_f32_e32 v16, v17, v14
	v_fma_f32 v13, -v13, v16, v15
	v_div_fmas_f32 v13, v13, v14, v16
	v_div_fixup_f32 v13, v13, v6, v10
	v_cmp_ngt_f32_e64 s[4:5], |v13|, s26
	s_or_b64 s[24:25], s[4:5], s[24:25]
	s_andn2_b64 exec, exec, s[24:25]
	s_cbranch_execnz .LBB17_32
; %bb.33:
	s_or_b64 exec, exec, s[24:25]
	s_mov_b32 s4, 0x3eb5c63d
	s_mov_b32 s5, 0x3e8483fa
	v_pk_mul_f32 v[6:7], v[6:7], s[4:5]
	v_sub_f32_e32 v6, v6, v7
	v_cndmask_b32_e64 v3, v3, v6, s[10:11]
.LBB17_34:
	s_or_b64 exec, exec, s[22:23]
                                        ; implicit-def: $vgpr6_vgpr7
.LBB17_35:
	s_andn2_saveexec_b64 s[22:23], s[6:7]
	s_cbranch_execz .LBB17_45
; %bb.36:
	s_mov_b32 s4, 0x8f800000
	v_mul_f32_e32 v3, 0xcf800000, v7
	v_cmp_lt_f32_e32 vcc, s4, v7
	v_cndmask_b32_e64 v3, -v7, v3, vcc
	v_sqrt_f32_e32 v6, v3
	v_mul_f32_e32 v7, -2.0, v7
	s_mov_b32 s6, 0x40400000
	v_add_u32_e32 v8, -1, v6
	v_fma_f32 v9, -v8, v6, v3
	v_cmp_ge_f32_e64 s[4:5], 0, v9
	v_add_u32_e32 v9, 1, v6
	v_cndmask_b32_e64 v8, v6, v8, s[4:5]
	v_fma_f32 v6, -v9, v6, v3
	v_cmp_lt_f32_e64 s[4:5], 0, v6
	v_cndmask_b32_e64 v6, v8, v9, s[4:5]
	v_mul_f32_e32 v8, 0x37800000, v6
	v_cndmask_b32_e32 v6, v6, v8, vcc
	v_mov_b32_e32 v8, 0x260
	v_cmp_class_f32_e32 vcc, v3, v8
	v_cndmask_b32_e32 v3, v6, v3, vcc
	v_mul_f32_e32 v6, v7, v3
	v_div_scale_f32 v7, s[4:5], s6, s6, v6
	v_rcp_f32_e32 v8, v7
	s_brev_b32 s4, 18
	v_fma_f32 v9, -v7, v8, 1.0
	v_fmac_f32_e32 v8, v9, v8
	v_div_scale_f32 v9, vcc, v6, s6, v6
	v_mul_f32_e32 v10, v9, v8
	v_fma_f32 v11, -v7, v10, v9
	v_fmac_f32_e32 v10, v11, v8
	v_fma_f32 v7, -v7, v10, v9
	v_div_fmas_f32 v7, v7, v8, v10
	v_div_fixup_f32 v8, v7, s6, v6
	v_add_f32_e32 v6, 0x3f490fdb, v8
	v_and_b32_e32 v7, 0x7fffffff, v6
	v_cmp_nlt_f32_e64 s[24:25], |v6|, s4
	v_lshrrev_b32_e32 v13, 23, v7
                                        ; implicit-def: $vgpr9
                                        ; implicit-def: $vgpr10
	s_and_saveexec_b64 s[4:5], s[24:25]
	s_xor_b64 s[26:27], exec, s[4:5]
	s_cbranch_execz .LBB17_38
; %bb.37:
	v_add_u32_e32 v9, 0xffffff88, v13
	v_not_b32_e32 v10, 63
	v_cmp_lt_u32_e32 vcc, 63, v9
	v_cndmask_b32_e32 v10, 0, v10, vcc
	v_add_u32_e32 v9, v10, v9
	v_not_b32_e32 v10, 31
	v_cmp_lt_u32_e64 s[4:5], 31, v9
	v_cndmask_b32_e64 v12, 0, v10, s[4:5]
	v_add_u32_e32 v9, v12, v9
	v_cmp_lt_u32_e64 s[6:7], 31, v9
	v_cndmask_b32_e64 v10, 0, v10, s[6:7]
	v_add_u32_e32 v9, v10, v9
	v_and_b32_e32 v10, 0x7fffff, v7
	v_or_b32_e32 v12, 0x800000, v10
	s_mov_b32 s10, 0xfe5163ab
	v_mad_u64_u32 v[14:15], s[10:11], v12, s10, 0
	v_mov_b32_e32 v11, 0
	v_mov_b32_e32 v10, v15
	s_mov_b32 s10, 0x3c439041
	v_mad_u64_u32 v[16:17], s[10:11], v12, s10, v[10:11]
	v_mov_b32_e32 v10, v17
	s_mov_b32 s10, 0xdb629599
	v_mad_u64_u32 v[18:19], s[10:11], v12, s10, v[10:11]
	;; [unrolled: 3-line block ×6, first 2 shown]
	v_cndmask_b32_e32 v15, v24, v20, vcc
	v_cndmask_b32_e32 v10, v10, v22, vcc
	;; [unrolled: 1-line block ×3, first 2 shown]
	v_cndmask_b32_e64 v12, v10, v15, s[4:5]
	v_cndmask_b32_e64 v10, v11, v10, s[4:5]
	v_cndmask_b32_e32 v11, v22, v18, vcc
	v_cndmask_b32_e64 v15, v15, v11, s[4:5]
	v_cndmask_b32_e64 v10, v10, v12, s[6:7]
	;; [unrolled: 1-line block ×3, first 2 shown]
	v_sub_u32_e32 v17, 32, v9
	v_alignbit_b32 v19, v10, v12, v17
	v_cmp_eq_u32_e64 s[10:11], 0, v9
	v_cndmask_b32_e64 v9, v19, v10, s[10:11]
	v_cndmask_b32_e32 v10, v20, v16, vcc
	v_cndmask_b32_e64 v11, v11, v10, s[4:5]
	v_cndmask_b32_e64 v15, v15, v11, s[6:7]
	v_alignbit_b32 v16, v12, v15, v17
	v_cndmask_b32_e64 v12, v16, v12, s[10:11]
	v_bfe_u32 v20, v9, 29, 1
	v_cndmask_b32_e32 v14, v18, v14, vcc
	v_alignbit_b32 v16, v9, v12, 30
	v_sub_u32_e32 v21, 0, v20
	v_cndmask_b32_e64 v10, v10, v14, s[4:5]
	v_xor_b32_e32 v22, v16, v21
	v_cndmask_b32_e64 v10, v11, v10, s[6:7]
	v_alignbit_b32 v11, v15, v10, v17
	v_ffbh_u32_e32 v14, v22
	v_cndmask_b32_e64 v11, v11, v15, s[10:11]
	v_add_u32_e32 v14, 1, v14
	v_cmp_ne_u32_e32 vcc, v16, v21
	v_alignbit_b32 v12, v12, v11, 30
	v_cndmask_b32_e32 v14, 33, v14, vcc
	v_alignbit_b32 v10, v11, v10, 30
	v_xor_b32_e32 v12, v12, v21
	v_sub_u32_e32 v15, 32, v14
	v_xor_b32_e32 v10, v10, v21
	v_alignbit_b32 v16, v22, v12, v15
	v_alignbit_b32 v10, v12, v10, v15
	;; [unrolled: 1-line block ×3, first 2 shown]
	v_ffbh_u32_e32 v12, v11
	v_min_u32_e32 v12, 32, v12
	v_lshrrev_b32_e32 v19, 29, v9
	v_sub_u32_e32 v15, 31, v12
	v_alignbit_b32 v10, v11, v10, v15
	v_lshlrev_b32_e32 v11, 31, v19
	v_or_b32_e32 v15, 0x33800000, v11
	v_add_lshl_u32 v12, v12, v14, 23
	v_lshrrev_b32_e32 v10, 9, v10
	v_sub_u32_e32 v12, v15, v12
	v_or_b32_e32 v10, v12, v10
	v_alignbit_b32 v12, v14, v16, 9
	v_or_b32_e32 v11, v12, v11
	v_xor_b32_e32 v11, 1.0, v11
	s_mov_b32 s4, 0x3fc90fda
	v_mul_f32_e32 v12, 0x3fc90fda, v11
	v_fma_f32 v14, v11, s4, -v12
	v_fmac_f32_e32 v14, 0x33a22168, v11
	v_fmac_f32_e32 v14, 0x3fc90fda, v10
	v_lshrrev_b32_e32 v9, 30, v9
	v_add_f32_e32 v10, v12, v14
	v_add_u32_e32 v9, v20, v9
	s_andn2_saveexec_b64 s[4:5], s[26:27]
	s_branch .LBB17_39
.LBB17_38:
	s_andn2_saveexec_b64 s[4:5], s[26:27]
.LBB17_39:
	s_mov_b32 s6, 0x3f22f983
	v_mul_f32_e64 v9, |v6|, s6
	v_rndne_f32_e32 v11, v9
	s_mov_b32 s6, 0xbfc90fda
	v_cvt_i32_f32_e32 v9, v11
	v_fma_f32 v10, v11, s6, |v6|
	v_fmac_f32_e32 v10, 0xb3a22168, v11
	v_fmac_f32_e32 v10, 0xa7c234c4, v11
; %bb.40:
	s_or_b64 exec, exec, s[4:5]
                                        ; implicit-def: $vgpr11
                                        ; implicit-def: $vgpr12
	s_and_saveexec_b64 s[4:5], s[24:25]
	s_xor_b64 s[24:25], exec, s[4:5]
	s_cbranch_execz .LBB17_42
; %bb.41:
	v_add_u32_e32 v11, 0xffffff88, v13
	v_not_b32_e32 v12, 63
	v_cmp_lt_u32_e32 vcc, 63, v11
	v_cndmask_b32_e32 v12, 0, v12, vcc
	v_add_u32_e32 v11, v12, v11
	v_not_b32_e32 v12, 31
	v_cmp_lt_u32_e64 s[4:5], 31, v11
	v_cndmask_b32_e64 v14, 0, v12, s[4:5]
	v_add_u32_e32 v11, v14, v11
	v_cmp_lt_u32_e64 s[6:7], 31, v11
	v_cndmask_b32_e64 v12, 0, v12, s[6:7]
	v_add_u32_e32 v11, v12, v11
	v_and_b32_e32 v12, 0x7fffff, v7
	v_or_b32_e32 v26, 0x800000, v12
	s_mov_b32 s10, 0xfe5163ab
	v_mad_u64_u32 v[14:15], s[10:11], v26, s10, 0
	v_mov_b32_e32 v13, 0
	v_mov_b32_e32 v12, v15
	s_mov_b32 s10, 0x3c439041
	v_mad_u64_u32 v[16:17], s[10:11], v26, s10, v[12:13]
	v_mov_b32_e32 v12, v17
	s_mov_b32 s10, 0xdb629599
	v_mad_u64_u32 v[18:19], s[10:11], v26, s10, v[12:13]
	;; [unrolled: 3-line block ×6, first 2 shown]
	v_cndmask_b32_e32 v15, v24, v20, vcc
	v_cndmask_b32_e32 v12, v12, v22, vcc
	;; [unrolled: 1-line block ×3, first 2 shown]
	v_cndmask_b32_e64 v17, v12, v15, s[4:5]
	v_cndmask_b32_e64 v12, v13, v12, s[4:5]
	v_cndmask_b32_e32 v13, v22, v18, vcc
	v_cndmask_b32_e64 v15, v15, v13, s[4:5]
	v_cndmask_b32_e64 v12, v12, v17, s[6:7]
	;; [unrolled: 1-line block ×3, first 2 shown]
	v_sub_u32_e32 v19, 32, v11
	v_alignbit_b32 v21, v12, v17, v19
	v_cmp_eq_u32_e64 s[10:11], 0, v11
	v_cndmask_b32_e64 v11, v21, v12, s[10:11]
	v_cndmask_b32_e32 v12, v20, v16, vcc
	v_cndmask_b32_e64 v13, v13, v12, s[4:5]
	v_cndmask_b32_e64 v15, v15, v13, s[6:7]
	v_alignbit_b32 v16, v17, v15, v19
	v_cndmask_b32_e32 v14, v18, v14, vcc
	v_cndmask_b32_e64 v16, v16, v17, s[10:11]
	v_bfe_u32 v21, v11, 29, 1
	v_cndmask_b32_e64 v12, v12, v14, s[4:5]
	v_alignbit_b32 v17, v11, v16, 30
	v_sub_u32_e32 v22, 0, v21
	v_cndmask_b32_e64 v12, v13, v12, s[6:7]
	v_xor_b32_e32 v23, v17, v22
	v_alignbit_b32 v13, v15, v12, v19
	v_cndmask_b32_e64 v13, v13, v15, s[10:11]
	v_ffbh_u32_e32 v15, v23
	v_add_u32_e32 v15, 1, v15
	v_cmp_ne_u32_e32 vcc, v17, v22
	v_alignbit_b32 v14, v16, v13, 30
	v_cndmask_b32_e32 v15, 33, v15, vcc
	v_alignbit_b32 v12, v13, v12, 30
	v_xor_b32_e32 v14, v14, v22
	v_sub_u32_e32 v16, 32, v15
	v_xor_b32_e32 v12, v12, v22
	v_alignbit_b32 v17, v23, v14, v16
	v_alignbit_b32 v12, v14, v12, v16
	;; [unrolled: 1-line block ×3, first 2 shown]
	v_ffbh_u32_e32 v14, v13
	v_min_u32_e32 v14, 32, v14
	v_lshrrev_b32_e32 v20, 29, v11
	v_sub_u32_e32 v16, 31, v14
	v_alignbit_b32 v12, v13, v12, v16
	v_lshlrev_b32_e32 v13, 31, v20
	v_or_b32_e32 v16, 0x33800000, v13
	v_add_lshl_u32 v14, v14, v15, 23
	v_lshrrev_b32_e32 v12, 9, v12
	v_sub_u32_e32 v14, v16, v14
	v_or_b32_e32 v12, v14, v12
	v_alignbit_b32 v14, v15, v17, 9
	v_or_b32_e32 v13, v14, v13
	v_xor_b32_e32 v13, 1.0, v13
	s_mov_b32 s4, 0x3fc90fda
	v_mul_f32_e32 v14, 0x3fc90fda, v13
	v_fma_f32 v15, v13, s4, -v14
	v_fmac_f32_e32 v15, 0x33a22168, v13
	v_fmac_f32_e32 v15, 0x3fc90fda, v12
	v_lshrrev_b32_e32 v11, 30, v11
	v_add_f32_e32 v12, v14, v15
	v_add_u32_e32 v11, v21, v11
	s_andn2_saveexec_b64 s[4:5], s[24:25]
	s_cbranch_execnz .LBB17_43
	s_branch .LBB17_44
.LBB17_42:
	s_andn2_saveexec_b64 s[4:5], s[24:25]
.LBB17_43:
	s_mov_b32 s6, 0x3f22f983
	v_mul_f32_e64 v11, |v6|, s6
	v_rndne_f32_e32 v13, v11
	s_mov_b32 s6, 0xbfc90fda
	v_cvt_i32_f32_e32 v11, v13
	v_fma_f32 v12, v13, s6, |v6|
	v_fmac_f32_e32 v12, 0xb3a22168, v13
	v_fmac_f32_e32 v12, 0xa7c234c4, v13
.LBB17_44:
	s_or_b64 exec, exec, s[4:5]
	v_div_scale_f32 v13, s[4:5], v8, v8, 1.0
	v_rcp_f32_e32 v14, v13
	v_div_scale_f32 v15, vcc, 1.0, v8, 1.0
	v_mov_b32_e32 v20, 0xbab64f3b
	v_fma_f32 v16, -v13, v14, 1.0
	v_fmac_f32_e32 v14, v16, v14
	v_mul_f32_e32 v16, v15, v14
	v_fma_f32 v17, -v13, v16, v15
	v_fmac_f32_e32 v16, v17, v14
	v_fma_f32 v13, -v13, v16, v15
	v_div_fmas_f32 v13, v13, v14, v16
	v_div_fixup_f32 v8, v13, v8, 1.0
	v_mul_f32_e32 v13, v8, v8
	v_mov_b32_e32 v14, 0xbe06db67
	v_fmac_f32_e32 v14, 0, v13
	v_mov_b32_e32 v15, 0xbf205f75
	v_fmac_f32_e32 v15, v13, v14
	;; [unrolled: 2-line block ×18, first 2 shown]
	v_mul_f32_e32 v15, v10, v10
	v_mov_b32_e32 v18, 0x3c0881c4
	v_fmac_f32_e32 v20, 0x37d75334, v15
	v_mov_b32_e32 v21, 0x3d2aabf7
	v_fmac_f32_e32 v18, 0xb94c1982, v15
	v_mov_b32_e32 v19, 0xbe2aaa9d
	v_fma_f32 v20, v15, v20, v21
	v_mov_b32_e32 v22, 0xbf000004
	v_fma_f32 v18, v15, v18, v19
	v_fma_f32 v20, v15, v20, v22
	v_mul_f32_e32 v18, v15, v18
	v_fma_f32 v15, v15, v20, 1.0
	v_and_b32_e32 v20, 1, v9
	v_lshlrev_b32_e32 v9, 30, v9
	v_fmac_f32_e32 v10, v10, v18
	v_cmp_eq_u32_e32 vcc, 0, v20
	v_and_b32_e32 v9, 0x80000000, v9
	v_xor_b32_e32 v7, v7, v6
	v_cndmask_b32_e32 v10, v15, v10, vcc
	v_xor_b32_e32 v7, v7, v9
	v_mul_f32_e32 v9, v13, v16
	v_xor_b32_e32 v7, v7, v10
	v_div_scale_f32 v10, s[4:5], v14, v14, v9
	v_rcp_f32_e32 v15, v10
	s_movk_i32 s6, 0x1f8
	v_mov_b32_e32 v16, 0x7fc00000
	v_cmp_class_f32_e64 s[4:5], v6, s6
	v_cndmask_b32_e64 v6, v16, v7, s[4:5]
	v_fma_f32 v7, -v10, v15, 1.0
	v_fmac_f32_e32 v15, v7, v15
	v_div_scale_f32 v7, vcc, v9, v14, v9
	v_mul_f32_e32 v20, v7, v15
	v_fma_f32 v23, -v10, v20, v7
	v_fmac_f32_e32 v20, v23, v15
	v_fma_f32 v7, -v10, v20, v7
	v_div_fmas_f32 v7, v7, v15, v20
	v_div_fixup_f32 v7, v7, v14, v9
	v_mov_b32_e32 v9, 0x3ca1a92f
	v_fmac_f32_e32 v9, 0, v13
	v_mov_b32_e32 v10, 0x3ec83ea8
	v_fmac_f32_e32 v10, v13, v9
	;; [unrolled: 2-line block ×17, first 2 shown]
	v_mov_b32_e32 v10, 0x3b873823
	s_mov_b32 s6, 0xf800000
	v_fmac_f32_e32 v10, v13, v14
	v_mul_f32_e32 v14, 0x4f800000, v3
	v_cmp_gt_f32_e32 vcc, s6, v3
	v_cndmask_b32_e32 v3, v3, v14, vcc
	v_sqrt_f32_e32 v14, v3
	s_mov_b32 s10, 0x3f106ebb
	v_mov_b32_e32 v15, 0x38d45b0f
	v_fmac_f32_e32 v15, v13, v10
	v_add_u32_e32 v20, -1, v14
	v_fma_f32 v23, -v20, v14, v3
	v_cmp_ge_f32_e64 s[6:7], 0, v23
	v_add_u32_e32 v23, 1, v14
	v_cndmask_b32_e64 v20, v14, v20, s[6:7]
	v_fma_f32 v14, -v23, v14, v3
	v_cmp_lt_f32_e64 s[6:7], 0, v14
	v_cndmask_b32_e64 v14, v20, v23, s[6:7]
	v_mul_f32_e32 v20, 0x37800000, v14
	v_cndmask_b32_e32 v14, v14, v20, vcc
	v_mov_b32_e32 v20, 0x260
	v_cmp_class_f32_e32 vcc, v3, v20
	v_cndmask_b32_e32 v3, v14, v3, vcc
	v_div_scale_f32 v14, s[6:7], v3, v3, s10
	v_rcp_f32_e32 v20, v14
	v_mov_b32_e32 v10, 0x359d422f
	v_fmac_f32_e32 v10, v13, v15
	v_mov_b32_e32 v15, 0x31a8fe3a
	v_fmac_f32_e32 v15, v13, v10
	v_fma_f32 v10, -v14, v20, 1.0
	v_fmac_f32_e32 v20, v10, v20
	v_div_scale_f32 v10, vcc, s10, v3, s10
	v_mul_f32_e32 v13, v10, v20
	v_fma_f32 v23, -v14, v13, v10
	v_fmac_f32_e32 v13, v23, v20
	v_fma_f32 v10, -v14, v13, v10
	v_div_fmas_f32 v10, v10, v20, v13
	v_mov_b32_e32 v17, 0x3c0881c4
	v_div_fixup_f32 v3, v10, v3, s10
	v_mul_f32_e32 v10, v12, v12
	v_mov_b32_e32 v18, 0xbab64f3b
	v_fmac_f32_e32 v17, 0xb94c1982, v10
	v_fmac_f32_e32 v19, v10, v17
	;; [unrolled: 1-line block ×3, first 2 shown]
	v_mul_f32_e32 v13, v10, v19
	v_fmac_f32_e32 v21, v10, v18
	v_fmac_f32_e32 v12, v12, v13
	;; [unrolled: 1-line block ×3, first 2 shown]
	v_and_b32_e32 v13, 1, v11
	v_mul_f32_e32 v8, v8, v9
	v_fma_f32 v10, v10, v22, 1.0
	v_cmp_eq_u32_e32 vcc, 0, v13
	v_div_scale_f32 v9, s[6:7], v15, v15, v8
	v_cndmask_b32_e64 v10, -v12, v10, vcc
	v_rcp_f32_e32 v12, v9
	v_lshlrev_b32_e32 v11, 30, v11
	v_and_b32_e32 v11, 0x80000000, v11
	v_xor_b32_e32 v10, v11, v10
	v_fma_f32 v11, -v9, v12, 1.0
	v_fmac_f32_e32 v12, v11, v12
	v_div_scale_f32 v11, vcc, v8, v15, v8
	v_mul_f32_e32 v13, v11, v12
	v_fma_f32 v14, -v9, v13, v11
	v_fmac_f32_e32 v13, v14, v12
	v_fma_f32 v9, -v9, v13, v11
	v_div_fmas_f32 v9, v9, v12, v13
	v_cndmask_b32_e64 v10, v16, v10, s[4:5]
	v_div_fixup_f32 v8, v9, v15, v8
	v_add_f32_e32 v7, 1.0, v7
	v_mul_f32_e32 v8, v8, v10
	v_fma_f32 v6, v7, v6, -v8
	v_mul_f32_e32 v3, v3, v6
.LBB17_45:
	s_or_b64 exec, exec, s[22:23]
.LBB17_46:
	s_or_b64 exec, exec, s[20:21]
.LBB17_47:
	s_or_b64 exec, exec, s[14:15]
	s_mov_b32 s28, 0x7f800000
	s_waitcnt vmcnt(0)
	v_cmp_neq_f32_e64 s[4:5], |v4|, s28
	v_mov_b32_e32 v7, 0x7fc00000
	v_mov_b32_e32 v6, 0x7fc00000
	s_and_saveexec_b64 s[14:15], s[4:5]
	s_cbranch_execz .LBB17_69
; %bb.48:
	s_mov_b32 s4, 0x42cfc8b4
	v_cmp_nlt_f32_e32 vcc, s4, v4
	v_mov_b32_e32 v6, 0
	s_and_saveexec_b64 s[20:21], vcc
	s_cbranch_execz .LBB17_68
; %bb.49:
	s_mov_b32 s4, 0xc005c28f
	v_cmp_ngt_f32_e32 vcc, s4, v4
	s_and_saveexec_b64 s[4:5], vcc
	s_xor_b64 s[6:7], exec, s[4:5]
	s_cbranch_execz .LBB17_57
; %bb.50:
	s_mov_b32 s4, 0x4005c28f
	v_cmp_nle_f32_e64 s[10:11], s4, v4
	v_cmp_le_f32_e32 vcc, s4, v4
	v_mov_b32_e32 v6, 0
	s_mov_b64 s[4:5], s[10:11]
	s_and_saveexec_b64 s[22:23], vcc
	s_cbranch_execz .LBB17_52
; %bb.51:
	s_mov_b32 s24, 0xf800000
	v_mul_f32_e32 v6, 0x4f800000, v4
	v_cmp_gt_f32_e32 vcc, s24, v4
	v_cndmask_b32_e32 v6, v4, v6, vcc
	v_sqrt_f32_e32 v8, v6
	v_add_f32_e32 v9, v4, v4
	s_mov_b32 s25, 0x40400000
	v_add_u32_e32 v10, -1, v8
	v_fma_f32 v11, -v10, v8, v6
	v_cmp_ge_f32_e64 s[4:5], 0, v11
	v_add_u32_e32 v11, 1, v8
	v_cndmask_b32_e64 v10, v8, v10, s[4:5]
	v_fma_f32 v8, -v11, v8, v6
	v_cmp_lt_f32_e64 s[4:5], 0, v8
	v_cndmask_b32_e64 v8, v10, v11, s[4:5]
	v_mul_f32_e32 v10, 0x37800000, v8
	v_cndmask_b32_e32 v8, v8, v10, vcc
	v_mov_b32_e32 v10, 0x260
	v_cmp_class_f32_e32 vcc, v6, v10
	v_cndmask_b32_e32 v6, v8, v6, vcc
	v_mul_f32_e32 v8, v9, v6
	v_div_scale_f32 v9, s[4:5], s25, s25, v8
	v_rcp_f32_e32 v11, v9
	v_fma_f32 v12, -v9, v11, 1.0
	v_fmac_f32_e32 v11, v12, v11
	v_div_scale_f32 v12, vcc, v8, s25, v8
	v_mul_f32_e32 v13, v12, v11
	v_fma_f32 v14, -v9, v13, v12
	v_fmac_f32_e32 v13, v14, v11
	v_fma_f32 v9, -v9, v13, v12
	v_div_fmas_f32 v9, v9, v11, v13
	v_div_fixup_f32 v11, v9, s25, v8
	v_div_scale_f32 v8, s[4:5], v11, v11, 1.0
	v_rcp_f32_e32 v9, v8
	v_fma_f32 v12, -v8, v9, 1.0
	v_fmac_f32_e32 v9, v12, v9
	v_div_scale_f32 v12, vcc, 1.0, v11, 1.0
	v_mul_f32_e32 v13, v12, v9
	v_fma_f32 v14, -v8, v13, v12
	v_fmac_f32_e32 v13, v14, v9
	v_fma_f32 v8, -v8, v13, v12
	v_div_fmas_f32 v8, v8, v9, v13
	v_div_fixup_f32 v8, v8, v11, 1.0
	v_mov_b32_e32 v9, 0x3eb16d71
	v_fmac_f32_e32 v9, 0, v8
	v_mov_b32_e32 v12, 0x41401f1c
	v_fmac_f32_e32 v12, v8, v9
	;; [unrolled: 2-line block ×14, first 2 shown]
	v_fma_f32 v12, v8, v12, 1.0
	v_fma_f32 v8, v8, v9, 1.0
	v_div_scale_f32 v9, s[4:5], v12, v12, v8
	v_rcp_f32_e32 v13, v9
	v_cmp_gt_f32_e64 s[4:5], s24, v6
	v_fma_f32 v14, -v9, v13, 1.0
	v_fmac_f32_e32 v13, v14, v13
	v_div_scale_f32 v14, vcc, v8, v12, v8
	v_mul_f32_e32 v15, v14, v13
	v_fma_f32 v16, -v9, v15, v14
	v_fmac_f32_e32 v15, v16, v13
	v_fma_f32 v9, -v9, v15, v14
	v_mul_f32_e32 v14, 0x4f800000, v6
	v_cndmask_b32_e64 v6, v6, v14, s[4:5]
	v_sqrt_f32_e32 v14, v6
	v_div_fmas_f32 v9, v9, v13, v15
	v_div_fixup_f32 v8, v9, v12, v8
	v_add_u32_e32 v9, -1, v14
	v_fma_f32 v12, -v9, v14, v6
	v_cmp_ge_f32_e32 vcc, 0, v12
	v_add_u32_e32 v12, 1, v14
	v_fma_f32 v13, -v12, v14, v6
	v_cndmask_b32_e32 v9, v14, v9, vcc
	v_cmp_lt_f32_e32 vcc, 0, v13
	v_cndmask_b32_e32 v9, v9, v12, vcc
	v_mul_f32_e32 v12, 0x37800000, v9
	v_cndmask_b32_e64 v9, v9, v12, s[4:5]
	v_cmp_class_f32_e32 vcc, v6, v10
	v_cndmask_b32_e32 v9, v9, v6, vcc
	s_mov_b32 s4, 0x3fb8aa3b
	v_mul_f32_e32 v6, 0x3fb8aa3b, v11
	v_fma_f32 v10, v11, s4, -v6
	v_rndne_f32_e32 v12, v6
	v_fmac_f32_e32 v10, 0x32a5705f, v11
	v_sub_f32_e32 v6, v6, v12
	v_add_f32_e32 v6, v6, v10
	v_exp_f32_e32 v6, v6
	v_cvt_i32_f32_e32 v10, v12
	s_mov_b32 s4, 0x3f106ebb
	s_mov_b32 s5, 2.0
	v_pk_mul_f32 v[8:9], v[8:9], s[4:5]
	s_mov_b32 s4, 0xc2ce8ed0
	v_ldexp_f32 v6, v6, v10
	v_cmp_ngt_f32_e32 vcc, s4, v11
	s_mov_b32 s4, 0x42b17218
	v_cndmask_b32_e32 v6, 0, v6, vcc
	v_mov_b32_e32 v10, 0x7f800000
	v_cmp_nlt_f32_e32 vcc, s4, v11
	v_cndmask_b32_e32 v6, v10, v6, vcc
	v_mul_f32_e32 v6, v9, v6
	v_div_scale_f32 v9, s[4:5], v6, v6, v8
	v_rcp_f32_e32 v10, v9
	s_mov_b32 s4, 0x41052018
	v_fma_f32 v11, -v9, v10, 1.0
	v_fmac_f32_e32 v10, v11, v10
	v_div_scale_f32 v11, vcc, v8, v6, v8
	v_mul_f32_e32 v12, v11, v10
	v_fma_f32 v13, -v9, v12, v11
	v_fmac_f32_e32 v12, v13, v10
	v_fma_f32 v9, -v9, v12, v11
	v_div_fmas_f32 v9, v9, v10, v12
	v_cmp_nlt_f32_e32 vcc, s4, v4
	s_andn2_b64 s[4:5], s[10:11], exec
	s_and_b64 s[24:25], vcc, exec
	v_div_fixup_f32 v6, v9, v6, v8
	s_or_b64 s[4:5], s[4:5], s[24:25]
.LBB17_52:
	s_or_b64 exec, exec, s[22:23]
	s_and_saveexec_b64 s[22:23], s[4:5]
	s_cbranch_execz .LBB17_56
; %bb.53:
	v_mul_f32_e32 v8, v4, v4
	v_mul_f32_e32 v8, v4, v8
	v_mov_b32_e32 v9, v8
	s_mov_b64 s[24:25], 0
	v_mov_b32_e32 v14, 1.0
	s_brev_b32 s26, 44
	v_mov_b32_e32 v10, 1.0
	v_mov_b32_e32 v11, v4
	v_mov_b32_e32 v12, 1.0
	v_mov_b32_e32 v13, v4
.LBB17_54:                              ; =>This Inner Loop Header: Depth=1
	v_pk_mul_f32 v[12:13], v[8:9], v[12:13]
	v_add_f32_e32 v15, 1.0, v14
	v_add_f32_e32 v16, 1.0, v15
	v_div_scale_f32 v17, s[4:5], v15, v15, v12
	v_rcp_f32_e32 v19, v17
	v_div_scale_f32 v20, s[4:5], v16, v16, v13
	v_rcp_f32_e32 v22, v20
	v_fma_f32 v23, -v17, v19, 1.0
	v_div_scale_f32 v18, vcc, v12, v15, v12
	v_fmac_f32_e32 v19, v23, v19
	v_fma_f32 v23, -v20, v22, 1.0
	v_div_scale_f32 v21, s[4:5], v13, v16, v13
	v_mul_f32_e32 v24, v18, v19
	v_fmac_f32_e32 v22, v23, v22
	v_fma_f32 v23, -v17, v24, v18
	v_mul_f32_e32 v25, v21, v22
	v_fmac_f32_e32 v24, v23, v19
	v_fma_f32 v23, -v20, v25, v21
	v_fma_f32 v17, -v17, v24, v18
	v_fmac_f32_e32 v25, v23, v22
	v_div_fmas_f32 v17, v17, v19, v24
	v_fma_f32 v18, -v20, v25, v21
	s_mov_b64 vcc, s[4:5]
	v_div_fixup_f32 v12, v17, v15, v12
	v_div_fmas_f32 v15, v18, v22, v25
	v_add_f32_e32 v14, 1.0, v16
	v_div_fixup_f32 v13, v15, v16, v13
	v_div_scale_f32 v15, s[4:5], v16, v16, v12
	v_div_scale_f32 v18, s[30:31], v14, v14, v13
	v_rcp_f32_e32 v20, v15
	v_rcp_f32_e32 v21, v18
	v_div_scale_f32 v17, s[4:5], v12, v16, v12
	v_fma_f32 v22, -v15, v20, 1.0
	v_fma_f32 v23, -v18, v21, 1.0
	v_div_scale_f32 v19, vcc, v13, v14, v13
	v_fmac_f32_e32 v20, v22, v20
	v_fmac_f32_e32 v21, v23, v21
	v_mul_f32_e32 v22, v17, v20
	v_mul_f32_e32 v23, v19, v21
	v_fma_f32 v24, -v15, v22, v17
	v_fma_f32 v25, -v18, v23, v19
	v_fmac_f32_e32 v22, v24, v20
	v_fmac_f32_e32 v23, v25, v21
	v_fma_f32 v15, -v15, v22, v17
	v_fma_f32 v17, -v18, v23, v19
	v_div_fmas_f32 v17, v17, v21, v23
	s_mov_b64 vcc, s[4:5]
	v_div_fmas_f32 v15, v15, v20, v22
	v_div_fixup_f32 v13, v17, v14, v13
	v_div_fixup_f32 v12, v15, v16, v12
	v_pk_add_f32 v[10:11], v[10:11], v[12:13]
	v_div_scale_f32 v15, s[4:5], v10, v10, v12
	v_rcp_f32_e32 v16, v15
	v_div_scale_f32 v17, vcc, v12, v10, v12
	v_fma_f32 v18, -v15, v16, 1.0
	v_fmac_f32_e32 v16, v18, v16
	v_mul_f32_e32 v18, v17, v16
	v_fma_f32 v19, -v15, v18, v17
	v_fmac_f32_e32 v18, v19, v16
	v_fma_f32 v15, -v15, v18, v17
	v_div_fmas_f32 v15, v15, v16, v18
	v_div_fixup_f32 v15, v15, v10, v12
	v_cmp_ngt_f32_e64 s[4:5], |v15|, s26
	s_or_b64 s[24:25], s[4:5], s[24:25]
	s_andn2_b64 exec, exec, s[24:25]
	s_cbranch_execnz .LBB17_54
; %bb.55:
	s_or_b64 exec, exec, s[24:25]
	s_mov_b32 s4, 0x3eb5c63d
	s_mov_b32 s5, 0x3e8483fa
	v_pk_mul_f32 v[8:9], v[10:11], s[4:5]
	v_sub_f32_e32 v8, v8, v9
	v_cndmask_b32_e64 v6, v6, v8, s[10:11]
.LBB17_56:
	s_or_b64 exec, exec, s[22:23]
.LBB17_57:
	s_andn2_saveexec_b64 s[22:23], s[6:7]
	s_cbranch_execz .LBB17_67
; %bb.58:
	s_mov_b32 s4, 0x8f800000
	v_mul_f32_e32 v6, 0xcf800000, v4
	v_cmp_lt_f32_e32 vcc, s4, v4
	v_cndmask_b32_e64 v6, -v4, v6, vcc
	v_sqrt_f32_e32 v8, v6
	v_mul_f32_e32 v9, -2.0, v4
	s_mov_b32 s6, 0x40400000
	v_add_u32_e32 v4, -1, v8
	v_fma_f32 v10, -v4, v8, v6
	v_cmp_ge_f32_e64 s[4:5], 0, v10
	v_add_u32_e32 v10, 1, v8
	v_cndmask_b32_e64 v4, v8, v4, s[4:5]
	v_fma_f32 v8, -v10, v8, v6
	v_cmp_lt_f32_e64 s[4:5], 0, v8
	v_cndmask_b32_e64 v4, v4, v10, s[4:5]
	v_mul_f32_e32 v8, 0x37800000, v4
	v_cndmask_b32_e32 v4, v4, v8, vcc
	v_mov_b32_e32 v8, 0x260
	v_cmp_class_f32_e32 vcc, v6, v8
	v_cndmask_b32_e32 v4, v4, v6, vcc
	v_mul_f32_e32 v6, v9, v4
	v_div_scale_f32 v8, s[4:5], s6, s6, v6
	v_rcp_f32_e32 v9, v8
	s_brev_b32 s4, 18
	v_fma_f32 v10, -v8, v9, 1.0
	v_fmac_f32_e32 v9, v10, v9
	v_div_scale_f32 v10, vcc, v6, s6, v6
	v_mul_f32_e32 v11, v10, v9
	v_fma_f32 v12, -v8, v11, v10
	v_fmac_f32_e32 v11, v12, v9
	v_fma_f32 v8, -v8, v11, v10
	v_div_fmas_f32 v8, v8, v9, v11
	v_div_fixup_f32 v9, v8, s6, v6
	v_add_f32_e32 v6, 0x3f490fdb, v9
	v_and_b32_e32 v8, 0x7fffffff, v6
	v_cmp_nlt_f32_e64 s[24:25], |v6|, s4
	v_lshrrev_b32_e32 v14, 23, v8
                                        ; implicit-def: $vgpr10
                                        ; implicit-def: $vgpr11
	s_and_saveexec_b64 s[4:5], s[24:25]
	s_xor_b64 s[26:27], exec, s[4:5]
	s_cbranch_execz .LBB17_60
; %bb.59:
	v_add_u32_e32 v10, 0xffffff88, v14
	v_not_b32_e32 v12, 63
	v_cmp_lt_u32_e32 vcc, 63, v10
	v_cndmask_b32_e32 v12, 0, v12, vcc
	v_add_u32_e32 v10, v12, v10
	v_not_b32_e32 v12, 31
	v_cmp_lt_u32_e64 s[4:5], 31, v10
	v_cndmask_b32_e64 v13, 0, v12, s[4:5]
	v_add_u32_e32 v10, v13, v10
	v_cmp_lt_u32_e64 s[6:7], 31, v10
	v_cndmask_b32_e64 v12, 0, v12, s[6:7]
	v_add_u32_e32 v15, v12, v10
	v_and_b32_e32 v10, 0x7fffff, v8
	v_or_b32_e32 v26, 0x800000, v10
	s_mov_b32 s10, 0xfe5163ab
	v_mad_u64_u32 v[12:13], s[10:11], v26, s10, 0
	v_mov_b32_e32 v11, 0
	v_mov_b32_e32 v10, v13
	s_mov_b32 s10, 0x3c439041
	v_mad_u64_u32 v[16:17], s[10:11], v26, s10, v[10:11]
	v_mov_b32_e32 v10, v17
	s_mov_b32 s10, 0xdb629599
	v_mad_u64_u32 v[18:19], s[10:11], v26, s10, v[10:11]
	;; [unrolled: 3-line block ×6, first 2 shown]
	v_cndmask_b32_e32 v13, v24, v20, vcc
	v_cndmask_b32_e32 v10, v10, v22, vcc
	;; [unrolled: 1-line block ×3, first 2 shown]
	v_cndmask_b32_e64 v17, v10, v13, s[4:5]
	v_cndmask_b32_e64 v10, v11, v10, s[4:5]
	v_cndmask_b32_e32 v11, v22, v18, vcc
	v_cndmask_b32_e64 v13, v13, v11, s[4:5]
	v_sub_u32_e32 v19, 32, v15
	v_cmp_eq_u32_e64 s[10:11], 0, v15
	v_cndmask_b32_e32 v15, v20, v16, vcc
	v_cndmask_b32_e64 v10, v10, v17, s[6:7]
	v_cndmask_b32_e64 v17, v17, v13, s[6:7]
	;; [unrolled: 1-line block ×3, first 2 shown]
	v_alignbit_b32 v21, v10, v17, v19
	v_cndmask_b32_e64 v13, v13, v11, s[6:7]
	v_cndmask_b32_e64 v10, v21, v10, s[10:11]
	v_alignbit_b32 v16, v17, v13, v19
	v_cndmask_b32_e64 v16, v16, v17, s[10:11]
	v_bfe_u32 v21, v10, 29, 1
	v_cndmask_b32_e32 v12, v18, v12, vcc
	v_alignbit_b32 v17, v10, v16, 30
	v_sub_u32_e32 v22, 0, v21
	v_cndmask_b32_e64 v12, v15, v12, s[4:5]
	v_xor_b32_e32 v23, v17, v22
	v_cndmask_b32_e64 v11, v11, v12, s[6:7]
	v_alignbit_b32 v12, v13, v11, v19
	v_ffbh_u32_e32 v15, v23
	v_cndmask_b32_e64 v12, v12, v13, s[10:11]
	v_add_u32_e32 v15, 1, v15
	v_cmp_ne_u32_e32 vcc, v17, v22
	v_alignbit_b32 v13, v16, v12, 30
	v_cndmask_b32_e32 v15, 33, v15, vcc
	v_alignbit_b32 v11, v12, v11, 30
	v_xor_b32_e32 v13, v13, v22
	v_sub_u32_e32 v16, 32, v15
	v_xor_b32_e32 v11, v11, v22
	v_alignbit_b32 v17, v23, v13, v16
	v_alignbit_b32 v11, v13, v11, v16
	;; [unrolled: 1-line block ×3, first 2 shown]
	v_ffbh_u32_e32 v13, v12
	v_min_u32_e32 v13, 32, v13
	v_lshrrev_b32_e32 v20, 29, v10
	v_sub_u32_e32 v16, 31, v13
	v_alignbit_b32 v11, v12, v11, v16
	v_lshlrev_b32_e32 v12, 31, v20
	v_or_b32_e32 v16, 0x33800000, v12
	v_add_lshl_u32 v13, v13, v15, 23
	v_lshrrev_b32_e32 v11, 9, v11
	v_sub_u32_e32 v13, v16, v13
	v_or_b32_e32 v11, v13, v11
	v_alignbit_b32 v13, v15, v17, 9
	v_or_b32_e32 v12, v13, v12
	v_xor_b32_e32 v12, 1.0, v12
	s_mov_b32 s4, 0x3fc90fda
	v_mul_f32_e32 v13, 0x3fc90fda, v12
	v_fma_f32 v15, v12, s4, -v13
	v_fmac_f32_e32 v15, 0x33a22168, v12
	v_fmac_f32_e32 v15, 0x3fc90fda, v11
	v_lshrrev_b32_e32 v10, 30, v10
	v_add_f32_e32 v11, v13, v15
	v_add_u32_e32 v10, v21, v10
	s_andn2_saveexec_b64 s[4:5], s[26:27]
	s_branch .LBB17_61
.LBB17_60:
	s_andn2_saveexec_b64 s[4:5], s[26:27]
.LBB17_61:
	s_mov_b32 s6, 0x3f22f983
	v_mul_f32_e64 v10, |v6|, s6
	v_rndne_f32_e32 v12, v10
	s_mov_b32 s6, 0xbfc90fda
	v_cvt_i32_f32_e32 v10, v12
	v_fma_f32 v11, v12, s6, |v6|
	v_fmac_f32_e32 v11, 0xb3a22168, v12
	v_fmac_f32_e32 v11, 0xa7c234c4, v12
; %bb.62:
	s_or_b64 exec, exec, s[4:5]
                                        ; implicit-def: $vgpr12
                                        ; implicit-def: $vgpr13
	s_and_saveexec_b64 s[4:5], s[24:25]
	s_xor_b64 s[24:25], exec, s[4:5]
	s_cbranch_execz .LBB17_64
; %bb.63:
	v_add_u32_e32 v12, 0xffffff88, v14
	v_not_b32_e32 v14, 63
	v_cmp_lt_u32_e32 vcc, 63, v12
	v_cndmask_b32_e32 v14, 0, v14, vcc
	v_add_u32_e32 v12, v14, v12
	v_not_b32_e32 v14, 31
	v_cmp_lt_u32_e64 s[4:5], 31, v12
	v_cndmask_b32_e64 v15, 0, v14, s[4:5]
	v_add_u32_e32 v12, v15, v12
	v_cmp_lt_u32_e64 s[6:7], 31, v12
	v_cndmask_b32_e64 v14, 0, v14, s[6:7]
	v_add_u32_e32 v26, v14, v12
	v_and_b32_e32 v12, 0x7fffff, v8
	v_or_b32_e32 v27, 0x800000, v12
	s_mov_b32 s10, 0xfe5163ab
	v_mad_u64_u32 v[14:15], s[10:11], v27, s10, 0
	v_mov_b32_e32 v13, 0
	v_mov_b32_e32 v12, v15
	s_mov_b32 s10, 0x3c439041
	v_mad_u64_u32 v[16:17], s[10:11], v27, s10, v[12:13]
	v_mov_b32_e32 v12, v17
	s_mov_b32 s10, 0xdb629599
	v_mad_u64_u32 v[18:19], s[10:11], v27, s10, v[12:13]
	;; [unrolled: 3-line block ×6, first 2 shown]
	v_cndmask_b32_e32 v15, v24, v20, vcc
	v_cndmask_b32_e32 v12, v12, v22, vcc
	;; [unrolled: 1-line block ×3, first 2 shown]
	v_cndmask_b32_e64 v17, v12, v15, s[4:5]
	v_cndmask_b32_e64 v12, v13, v12, s[4:5]
	v_cndmask_b32_e32 v13, v22, v18, vcc
	v_cndmask_b32_e64 v15, v15, v13, s[4:5]
	v_cndmask_b32_e32 v16, v20, v16, vcc
	v_cndmask_b32_e64 v12, v12, v17, s[6:7]
	v_cndmask_b32_e64 v17, v17, v15, s[6:7]
	v_sub_u32_e32 v19, 32, v26
	v_cndmask_b32_e64 v13, v13, v16, s[4:5]
	v_alignbit_b32 v21, v12, v17, v19
	v_cmp_eq_u32_e64 s[10:11], 0, v26
	v_cndmask_b32_e64 v15, v15, v13, s[6:7]
	v_cndmask_b32_e64 v12, v21, v12, s[10:11]
	v_alignbit_b32 v20, v17, v15, v19
	v_cndmask_b32_e64 v17, v20, v17, s[10:11]
	v_bfe_u32 v22, v12, 29, 1
	v_cndmask_b32_e32 v14, v18, v14, vcc
	v_alignbit_b32 v20, v12, v17, 30
	v_sub_u32_e32 v23, 0, v22
	v_cndmask_b32_e64 v14, v16, v14, s[4:5]
	v_xor_b32_e32 v24, v20, v23
	v_cndmask_b32_e64 v13, v13, v14, s[6:7]
	v_alignbit_b32 v14, v15, v13, v19
	v_ffbh_u32_e32 v16, v24
	v_cndmask_b32_e64 v14, v14, v15, s[10:11]
	v_add_u32_e32 v16, 1, v16
	v_cmp_ne_u32_e32 vcc, v20, v23
	v_alignbit_b32 v15, v17, v14, 30
	v_cndmask_b32_e32 v16, 33, v16, vcc
	v_alignbit_b32 v13, v14, v13, 30
	v_xor_b32_e32 v15, v15, v23
	v_sub_u32_e32 v17, 32, v16
	v_xor_b32_e32 v13, v13, v23
	v_alignbit_b32 v18, v24, v15, v17
	v_alignbit_b32 v13, v15, v13, v17
	;; [unrolled: 1-line block ×3, first 2 shown]
	v_ffbh_u32_e32 v15, v14
	v_min_u32_e32 v15, 32, v15
	v_lshrrev_b32_e32 v21, 29, v12
	v_sub_u32_e32 v17, 31, v15
	v_alignbit_b32 v13, v14, v13, v17
	v_lshlrev_b32_e32 v14, 31, v21
	v_or_b32_e32 v17, 0x33800000, v14
	v_add_lshl_u32 v15, v15, v16, 23
	v_lshrrev_b32_e32 v13, 9, v13
	v_sub_u32_e32 v15, v17, v15
	v_or_b32_e32 v13, v15, v13
	v_alignbit_b32 v15, v16, v18, 9
	v_or_b32_e32 v14, v15, v14
	v_xor_b32_e32 v14, 1.0, v14
	s_mov_b32 s4, 0x3fc90fda
	v_mul_f32_e32 v15, 0x3fc90fda, v14
	v_fma_f32 v16, v14, s4, -v15
	v_fmac_f32_e32 v16, 0x33a22168, v14
	v_fmac_f32_e32 v16, 0x3fc90fda, v13
	v_lshrrev_b32_e32 v12, 30, v12
	v_add_f32_e32 v13, v15, v16
	v_add_u32_e32 v12, v22, v12
	s_andn2_saveexec_b64 s[4:5], s[24:25]
	s_cbranch_execnz .LBB17_65
	s_branch .LBB17_66
.LBB17_64:
	s_andn2_saveexec_b64 s[4:5], s[24:25]
.LBB17_65:
	s_mov_b32 s6, 0x3f22f983
	v_mul_f32_e64 v12, |v6|, s6
	v_rndne_f32_e32 v14, v12
	s_mov_b32 s6, 0xbfc90fda
	v_cvt_i32_f32_e32 v12, v14
	v_fma_f32 v13, v14, s6, |v6|
	v_fmac_f32_e32 v13, 0xb3a22168, v14
	v_fmac_f32_e32 v13, 0xa7c234c4, v14
.LBB17_66:
	s_or_b64 exec, exec, s[4:5]
	v_div_scale_f32 v14, s[4:5], v9, v9, 1.0
	v_rcp_f32_e32 v15, v14
	v_div_scale_f32 v16, vcc, 1.0, v9, 1.0
	v_mov_b32_e32 v21, 0xbab64f3b
	v_fma_f32 v17, -v14, v15, 1.0
	v_fmac_f32_e32 v15, v17, v15
	v_mul_f32_e32 v17, v16, v15
	v_fma_f32 v18, -v14, v17, v16
	v_fmac_f32_e32 v17, v18, v15
	v_fma_f32 v14, -v14, v17, v16
	v_div_fmas_f32 v14, v14, v15, v17
	v_div_fixup_f32 v9, v14, v9, 1.0
	v_mul_f32_e32 v14, v9, v9
	v_mov_b32_e32 v15, 0xbe06db67
	v_fmac_f32_e32 v15, 0, v14
	v_mov_b32_e32 v16, 0xbf205f75
	v_fmac_f32_e32 v16, v14, v15
	v_mov_b32_e32 v15, 0xbf3172ce
	v_fmac_f32_e32 v15, v14, v16
	v_mov_b32_e32 v16, 0xbe8f3f52
	v_fmac_f32_e32 v16, v14, v15
	v_mov_b32_e32 v15, 0xbd497b78
	v_fmac_f32_e32 v15, v14, v16
	v_mov_b32_e32 v16, 0xbb85200e
	v_fmac_f32_e32 v16, v14, v15
	v_mov_b32_e32 v15, 0xb9270375
	v_fmac_f32_e32 v15, v14, v16
	v_mov_b32_e32 v16, 0xb63a53c1
	v_fmac_f32_e32 v16, v14, v15
	v_mov_b32_e32 v15, 0x4155b259
	v_fmac_f32_e32 v15, 0, v14
	v_mov_b32_e32 v17, 0x4202bae2
	v_fmac_f32_e32 v17, v14, v15
	v_mov_b32_e32 v15, 0x41d5e4c5
	v_fmac_f32_e32 v15, v14, v17
	v_mov_b32_e32 v17, 0x4112fe41
	v_fmac_f32_e32 v17, v14, v15
	v_mov_b32_e32 v15, 0x3fbcd65a
	v_fmac_f32_e32 v15, v14, v17
	v_mov_b32_e32 v17, 0x3deced66
	v_fmac_f32_e32 v17, v14, v15
	v_mov_b32_e32 v15, 0x3b904657
	v_fmac_f32_e32 v15, v14, v17
	v_mov_b32_e32 v17, 0x389e46bd
	v_fmac_f32_e32 v17, v14, v15
	v_mov_b32_e32 v15, 0x34f295ce
	v_fmac_f32_e32 v15, v14, v17
	v_mov_b32_e32 v17, 0xb29020e8
	v_fmac_f32_e32 v17, v14, v16
	v_mul_f32_e32 v16, v11, v11
	v_mov_b32_e32 v19, 0x3c0881c4
	v_fmac_f32_e32 v21, 0x37d75334, v16
	v_mov_b32_e32 v22, 0x3d2aabf7
	v_fmac_f32_e32 v19, 0xb94c1982, v16
	v_mov_b32_e32 v20, 0xbe2aaa9d
	v_fma_f32 v21, v16, v21, v22
	v_mov_b32_e32 v23, 0xbf000004
	v_fma_f32 v19, v16, v19, v20
	v_fma_f32 v21, v16, v21, v23
	v_mul_f32_e32 v19, v16, v19
	v_fma_f32 v16, v16, v21, 1.0
	v_and_b32_e32 v21, 1, v10
	v_lshlrev_b32_e32 v10, 30, v10
	v_fmac_f32_e32 v11, v11, v19
	v_cmp_eq_u32_e32 vcc, 0, v21
	v_and_b32_e32 v10, 0x80000000, v10
	v_xor_b32_e32 v8, v8, v6
	v_cndmask_b32_e32 v11, v16, v11, vcc
	v_xor_b32_e32 v8, v8, v10
	v_mul_f32_e32 v10, v14, v17
	v_xor_b32_e32 v8, v8, v11
	v_div_scale_f32 v11, s[4:5], v15, v15, v10
	v_rcp_f32_e32 v16, v11
	s_movk_i32 s6, 0x1f8
	v_mov_b32_e32 v17, 0x7fc00000
	v_cmp_class_f32_e64 s[4:5], v6, s6
	v_cndmask_b32_e64 v6, v17, v8, s[4:5]
	v_fma_f32 v8, -v11, v16, 1.0
	v_fmac_f32_e32 v16, v8, v16
	v_div_scale_f32 v8, vcc, v10, v15, v10
	v_mul_f32_e32 v21, v8, v16
	v_fma_f32 v24, -v11, v21, v8
	v_fmac_f32_e32 v21, v24, v16
	v_fma_f32 v8, -v11, v21, v8
	v_div_fmas_f32 v8, v8, v16, v21
	v_div_fixup_f32 v8, v8, v15, v10
	v_mov_b32_e32 v10, 0x3ca1a92f
	v_fmac_f32_e32 v10, 0, v14
	v_mov_b32_e32 v11, 0x3ec83ea8
	v_fmac_f32_e32 v11, v14, v10
	v_mov_b32_e32 v10, 0x3f886c1a
	v_fmac_f32_e32 v10, v14, v11
	v_mov_b32_e32 v11, 0x3f706d65
	v_fmac_f32_e32 v11, v14, v10
	v_mov_b32_e32 v10, 0x3eb3f34e
	v_fmac_f32_e32 v10, v14, v11
	v_mov_b32_e32 v11, 0x3d81d209
	v_fmac_f32_e32 v11, v14, v10
	v_mov_b32_e32 v10, 0x3bbff4d0
	v_fmac_f32_e32 v10, v14, v11
	v_mov_b32_e32 v11, 0x39944bb3
	v_fmac_f32_e32 v11, v14, v10
	v_mov_b32_e32 v10, 0x36ea79eb
	v_fmac_f32_e32 v10, v14, v11
	v_mov_b32_e32 v11, 0x33ae5496
	v_fmac_f32_e32 v11, v14, v10
	v_mov_b32_e32 v10, 0x2fbbc524
	v_fmac_f32_e32 v10, v14, v11
	v_mov_b32_e32 v11, 0x4114f160
	v_fmac_f32_e32 v11, 0, v14
	v_mov_b32_e32 v15, 0x419eaeae
	v_fmac_f32_e32 v15, v14, v11
	v_mov_b32_e32 v11, 0x417908dc
	v_fmac_f32_e32 v11, v14, v15
	v_mov_b32_e32 v15, 0x40af4271
	v_fmac_f32_e32 v15, v14, v11
	v_mov_b32_e32 v11, 0x3f744c96
	v_fmac_f32_e32 v11, v14, v15
	v_mov_b32_e32 v15, 0x3db110ef
	v_fmac_f32_e32 v15, v14, v11
	v_mov_b32_e32 v11, 0x3b873823
	s_mov_b32 s6, 0xf800000
	v_fmac_f32_e32 v11, v14, v15
	v_mul_f32_e32 v15, 0x4f800000, v4
	v_cmp_gt_f32_e32 vcc, s6, v4
	v_cndmask_b32_e32 v4, v4, v15, vcc
	v_sqrt_f32_e32 v15, v4
	s_mov_b32 s10, 0x3f106ebb
	v_mov_b32_e32 v16, 0x38d45b0f
	v_fmac_f32_e32 v16, v14, v11
	v_add_u32_e32 v21, -1, v15
	v_fma_f32 v24, -v21, v15, v4
	v_cmp_ge_f32_e64 s[6:7], 0, v24
	v_add_u32_e32 v24, 1, v15
	v_cndmask_b32_e64 v21, v15, v21, s[6:7]
	v_fma_f32 v15, -v24, v15, v4
	v_cmp_lt_f32_e64 s[6:7], 0, v15
	v_cndmask_b32_e64 v15, v21, v24, s[6:7]
	v_mul_f32_e32 v21, 0x37800000, v15
	v_cndmask_b32_e32 v15, v15, v21, vcc
	v_mov_b32_e32 v21, 0x260
	v_cmp_class_f32_e32 vcc, v4, v21
	v_cndmask_b32_e32 v4, v15, v4, vcc
	v_div_scale_f32 v15, s[6:7], v4, v4, s10
	v_rcp_f32_e32 v21, v15
	v_mov_b32_e32 v11, 0x359d422f
	v_fmac_f32_e32 v11, v14, v16
	v_mov_b32_e32 v16, 0x31a8fe3a
	v_fmac_f32_e32 v16, v14, v11
	v_fma_f32 v11, -v15, v21, 1.0
	v_fmac_f32_e32 v21, v11, v21
	v_div_scale_f32 v11, vcc, s10, v4, s10
	v_mul_f32_e32 v14, v11, v21
	v_fma_f32 v24, -v15, v14, v11
	v_fmac_f32_e32 v14, v24, v21
	v_fma_f32 v11, -v15, v14, v11
	v_div_fmas_f32 v11, v11, v21, v14
	v_mov_b32_e32 v18, 0x3c0881c4
	v_div_fixup_f32 v4, v11, v4, s10
	v_mul_f32_e32 v11, v13, v13
	v_mov_b32_e32 v19, 0xbab64f3b
	v_fmac_f32_e32 v18, 0xb94c1982, v11
	v_fmac_f32_e32 v20, v11, v18
	;; [unrolled: 1-line block ×3, first 2 shown]
	v_mul_f32_e32 v14, v11, v20
	v_fmac_f32_e32 v22, v11, v19
	v_fmac_f32_e32 v13, v13, v14
	v_fmac_f32_e32 v23, v11, v22
	v_and_b32_e32 v14, 1, v12
	v_mul_f32_e32 v9, v9, v10
	v_fma_f32 v11, v11, v23, 1.0
	v_cmp_eq_u32_e32 vcc, 0, v14
	v_div_scale_f32 v10, s[6:7], v16, v16, v9
	v_cndmask_b32_e64 v11, -v13, v11, vcc
	v_rcp_f32_e32 v13, v10
	v_lshlrev_b32_e32 v12, 30, v12
	v_and_b32_e32 v12, 0x80000000, v12
	v_xor_b32_e32 v11, v12, v11
	v_fma_f32 v12, -v10, v13, 1.0
	v_fmac_f32_e32 v13, v12, v13
	v_div_scale_f32 v12, vcc, v9, v16, v9
	v_mul_f32_e32 v14, v12, v13
	v_fma_f32 v15, -v10, v14, v12
	v_fmac_f32_e32 v14, v15, v13
	v_fma_f32 v10, -v10, v14, v12
	v_div_fmas_f32 v10, v10, v13, v14
	v_cndmask_b32_e64 v11, v17, v11, s[4:5]
	v_div_fixup_f32 v9, v10, v16, v9
	v_add_f32_e32 v8, 1.0, v8
	v_mul_f32_e32 v9, v9, v11
	v_fma_f32 v6, v8, v6, -v9
	v_mul_f32_e32 v6, v4, v6
.LBB17_67:
	s_or_b64 exec, exec, s[22:23]
.LBB17_68:
	s_or_b64 exec, exec, s[20:21]
.LBB17_69:
	s_or_b64 exec, exec, s[14:15]
	v_cmp_neq_f32_e64 s[4:5], |v5|, s28
	s_and_saveexec_b64 s[14:15], s[4:5]
	s_cbranch_execz .LBB17_91
; %bb.70:
	s_mov_b32 s4, 0x42cfc8b4
	v_cmp_nlt_f32_e32 vcc, s4, v5
	v_mov_b32_e32 v7, 0
	s_and_saveexec_b64 s[20:21], vcc
	s_cbranch_execz .LBB17_90
; %bb.71:
	s_mov_b32 s4, 0xc005c28f
	v_cmp_ngt_f32_e32 vcc, s4, v5
	s_and_saveexec_b64 s[4:5], vcc
	s_xor_b64 s[6:7], exec, s[4:5]
	s_cbranch_execz .LBB17_79
; %bb.72:
	s_mov_b32 s4, 0x4005c28f
	v_cmp_nle_f32_e64 s[10:11], s4, v5
	v_cmp_le_f32_e32 vcc, s4, v5
	v_mov_b32_e32 v7, 0
	s_mov_b64 s[4:5], s[10:11]
	s_and_saveexec_b64 s[22:23], vcc
	s_cbranch_execz .LBB17_74
; %bb.73:
	s_mov_b32 s24, 0xf800000
	v_mul_f32_e32 v4, 0x4f800000, v5
	v_cmp_gt_f32_e32 vcc, s24, v5
	v_cndmask_b32_e32 v4, v5, v4, vcc
	v_sqrt_f32_e32 v7, v4
	v_add_f32_e32 v8, v5, v5
	s_mov_b32 s25, 0x40400000
	v_add_u32_e32 v9, -1, v7
	v_fma_f32 v10, -v9, v7, v4
	v_cmp_ge_f32_e64 s[4:5], 0, v10
	v_add_u32_e32 v10, 1, v7
	v_cndmask_b32_e64 v9, v7, v9, s[4:5]
	v_fma_f32 v7, -v10, v7, v4
	v_cmp_lt_f32_e64 s[4:5], 0, v7
	v_cndmask_b32_e64 v7, v9, v10, s[4:5]
	v_mul_f32_e32 v9, 0x37800000, v7
	v_cndmask_b32_e32 v7, v7, v9, vcc
	v_mov_b32_e32 v9, 0x260
	v_cmp_class_f32_e32 vcc, v4, v9
	v_cndmask_b32_e32 v4, v7, v4, vcc
	v_mul_f32_e32 v7, v8, v4
	v_div_scale_f32 v8, s[4:5], s25, s25, v7
	v_rcp_f32_e32 v10, v8
	v_fma_f32 v11, -v8, v10, 1.0
	v_fmac_f32_e32 v10, v11, v10
	v_div_scale_f32 v11, vcc, v7, s25, v7
	v_mul_f32_e32 v12, v11, v10
	v_fma_f32 v13, -v8, v12, v11
	v_fmac_f32_e32 v12, v13, v10
	v_fma_f32 v8, -v8, v12, v11
	v_div_fmas_f32 v8, v8, v10, v12
	v_div_fixup_f32 v7, v8, s25, v7
	v_div_scale_f32 v8, s[4:5], v7, v7, 1.0
	v_rcp_f32_e32 v10, v8
	v_fma_f32 v11, -v8, v10, 1.0
	v_fmac_f32_e32 v10, v11, v10
	v_div_scale_f32 v11, vcc, 1.0, v7, 1.0
	v_mul_f32_e32 v12, v11, v10
	v_fma_f32 v13, -v8, v12, v11
	v_fmac_f32_e32 v12, v13, v10
	v_fma_f32 v8, -v8, v12, v11
	v_div_fmas_f32 v8, v8, v10, v12
	v_div_fixup_f32 v8, v8, v7, 1.0
	v_mov_b32_e32 v10, 0x3eb16d71
	v_fmac_f32_e32 v10, 0, v8
	v_mov_b32_e32 v11, 0x41401f1c
	v_fmac_f32_e32 v11, v8, v10
	;; [unrolled: 2-line block ×14, first 2 shown]
	v_fma_f32 v11, v8, v11, 1.0
	v_fma_f32 v8, v8, v10, 1.0
	v_div_scale_f32 v10, s[4:5], v11, v11, v8
	v_rcp_f32_e32 v12, v10
	v_cmp_gt_f32_e64 s[4:5], s24, v4
	v_fma_f32 v13, -v10, v12, 1.0
	v_fmac_f32_e32 v12, v13, v12
	v_div_scale_f32 v13, vcc, v8, v11, v8
	v_mul_f32_e32 v14, v13, v12
	v_fma_f32 v15, -v10, v14, v13
	v_fmac_f32_e32 v14, v15, v12
	v_fma_f32 v10, -v10, v14, v13
	v_mul_f32_e32 v13, 0x4f800000, v4
	v_cndmask_b32_e64 v4, v4, v13, s[4:5]
	v_sqrt_f32_e32 v13, v4
	v_div_fmas_f32 v10, v10, v12, v14
	v_div_fixup_f32 v8, v10, v11, v8
	v_add_u32_e32 v10, -1, v13
	v_fma_f32 v11, -v10, v13, v4
	v_cmp_ge_f32_e32 vcc, 0, v11
	v_add_u32_e32 v11, 1, v13
	v_fma_f32 v12, -v11, v13, v4
	v_cndmask_b32_e32 v10, v13, v10, vcc
	v_cmp_lt_f32_e32 vcc, 0, v12
	v_cndmask_b32_e32 v10, v10, v11, vcc
	v_mul_f32_e32 v11, 0x37800000, v10
	v_cndmask_b32_e64 v10, v10, v11, s[4:5]
	v_cmp_class_f32_e32 vcc, v4, v9
	v_cndmask_b32_e32 v9, v10, v4, vcc
	s_mov_b32 s4, 0x3fb8aa3b
	v_mul_f32_e32 v4, 0x3fb8aa3b, v7
	v_fma_f32 v10, v7, s4, -v4
	v_rndne_f32_e32 v11, v4
	v_fmac_f32_e32 v10, 0x32a5705f, v7
	v_sub_f32_e32 v4, v4, v11
	v_add_f32_e32 v4, v4, v10
	v_exp_f32_e32 v4, v4
	v_cvt_i32_f32_e32 v10, v11
	s_mov_b32 s4, 0x3f106ebb
	s_mov_b32 s5, 2.0
	v_pk_mul_f32 v[8:9], v[8:9], s[4:5]
	s_mov_b32 s4, 0xc2ce8ed0
	v_ldexp_f32 v4, v4, v10
	v_cmp_ngt_f32_e32 vcc, s4, v7
	s_mov_b32 s4, 0x42b17218
	v_cndmask_b32_e32 v4, 0, v4, vcc
	v_mov_b32_e32 v10, 0x7f800000
	v_cmp_nlt_f32_e32 vcc, s4, v7
	v_cndmask_b32_e32 v4, v10, v4, vcc
	v_mul_f32_e32 v4, v9, v4
	v_div_scale_f32 v7, s[4:5], v4, v4, v8
	v_rcp_f32_e32 v9, v7
	s_mov_b32 s4, 0x41052018
	v_fma_f32 v10, -v7, v9, 1.0
	v_fmac_f32_e32 v9, v10, v9
	v_div_scale_f32 v10, vcc, v8, v4, v8
	v_mul_f32_e32 v11, v10, v9
	v_fma_f32 v12, -v7, v11, v10
	v_fmac_f32_e32 v11, v12, v9
	v_fma_f32 v7, -v7, v11, v10
	v_div_fmas_f32 v7, v7, v9, v11
	v_cmp_nlt_f32_e32 vcc, s4, v5
	s_andn2_b64 s[4:5], s[10:11], exec
	s_and_b64 s[24:25], vcc, exec
	v_div_fixup_f32 v7, v7, v4, v8
	s_or_b64 s[4:5], s[4:5], s[24:25]
.LBB17_74:
	s_or_b64 exec, exec, s[22:23]
	s_and_saveexec_b64 s[22:23], s[4:5]
	s_cbranch_execz .LBB17_78
; %bb.75:
	v_mul_f32_e32 v4, v5, v5
	v_mul_f32_e32 v8, v5, v4
	v_mov_b32_e32 v12, 1.0
	v_mov_b32_e32 v9, v8
	s_mov_b64 s[24:25], 0
	s_brev_b32 s26, 44
	v_mov_b32_e32 v4, v12
	v_mov_b32_e32 v10, 1.0
	v_mov_b32_e32 v11, v5
.LBB17_76:                              ; =>This Inner Loop Header: Depth=1
	v_pk_mul_f32 v[10:11], v[8:9], v[10:11]
	v_add_f32_e32 v13, 1.0, v12
	v_add_f32_e32 v14, 1.0, v13
	v_div_scale_f32 v15, s[4:5], v13, v13, v10
	v_rcp_f32_e32 v17, v15
	v_div_scale_f32 v18, s[4:5], v14, v14, v11
	v_rcp_f32_e32 v20, v18
	v_fma_f32 v21, -v15, v17, 1.0
	v_div_scale_f32 v16, vcc, v10, v13, v10
	v_fmac_f32_e32 v17, v21, v17
	v_fma_f32 v21, -v18, v20, 1.0
	v_div_scale_f32 v19, s[4:5], v11, v14, v11
	v_mul_f32_e32 v22, v16, v17
	v_fmac_f32_e32 v20, v21, v20
	v_fma_f32 v21, -v15, v22, v16
	v_mul_f32_e32 v23, v19, v20
	v_fmac_f32_e32 v22, v21, v17
	v_fma_f32 v21, -v18, v23, v19
	v_fma_f32 v15, -v15, v22, v16
	v_fmac_f32_e32 v23, v21, v20
	v_div_fmas_f32 v15, v15, v17, v22
	v_fma_f32 v16, -v18, v23, v19
	s_mov_b64 vcc, s[4:5]
	v_div_fixup_f32 v10, v15, v13, v10
	v_div_fmas_f32 v13, v16, v20, v23
	v_add_f32_e32 v12, 1.0, v14
	v_div_fixup_f32 v11, v13, v14, v11
	v_div_scale_f32 v13, s[4:5], v14, v14, v10
	v_div_scale_f32 v16, s[28:29], v12, v12, v11
	v_rcp_f32_e32 v18, v13
	v_rcp_f32_e32 v19, v16
	v_div_scale_f32 v15, s[4:5], v10, v14, v10
	v_fma_f32 v20, -v13, v18, 1.0
	v_fma_f32 v21, -v16, v19, 1.0
	v_div_scale_f32 v17, vcc, v11, v12, v11
	v_fmac_f32_e32 v18, v20, v18
	v_fmac_f32_e32 v19, v21, v19
	v_mul_f32_e32 v20, v15, v18
	v_mul_f32_e32 v21, v17, v19
	v_fma_f32 v22, -v13, v20, v15
	v_fma_f32 v23, -v16, v21, v17
	v_fmac_f32_e32 v20, v22, v18
	v_fmac_f32_e32 v21, v23, v19
	v_fma_f32 v13, -v13, v20, v15
	v_fma_f32 v15, -v16, v21, v17
	v_div_fmas_f32 v15, v15, v19, v21
	s_mov_b64 vcc, s[4:5]
	v_div_fmas_f32 v13, v13, v18, v20
	v_div_fixup_f32 v11, v15, v12, v11
	v_div_fixup_f32 v10, v13, v14, v10
	v_pk_add_f32 v[4:5], v[4:5], v[10:11]
	v_div_scale_f32 v13, s[4:5], v4, v4, v10
	v_rcp_f32_e32 v14, v13
	v_div_scale_f32 v15, vcc, v10, v4, v10
	v_fma_f32 v16, -v13, v14, 1.0
	v_fmac_f32_e32 v14, v16, v14
	v_mul_f32_e32 v16, v15, v14
	v_fma_f32 v17, -v13, v16, v15
	v_fmac_f32_e32 v16, v17, v14
	v_fma_f32 v13, -v13, v16, v15
	v_div_fmas_f32 v13, v13, v14, v16
	v_div_fixup_f32 v13, v13, v4, v10
	v_cmp_ngt_f32_e64 s[4:5], |v13|, s26
	s_or_b64 s[24:25], s[4:5], s[24:25]
	s_andn2_b64 exec, exec, s[24:25]
	s_cbranch_execnz .LBB17_76
; %bb.77:
	s_or_b64 exec, exec, s[24:25]
	s_mov_b32 s4, 0x3eb5c63d
	s_mov_b32 s5, 0x3e8483fa
	v_pk_mul_f32 v[4:5], v[4:5], s[4:5]
	v_sub_f32_e32 v4, v4, v5
	v_cndmask_b32_e64 v7, v7, v4, s[10:11]
.LBB17_78:
	s_or_b64 exec, exec, s[22:23]
                                        ; implicit-def: $vgpr4_vgpr5
.LBB17_79:
	s_andn2_saveexec_b64 s[22:23], s[6:7]
	s_cbranch_execz .LBB17_89
; %bb.80:
	s_mov_b32 s4, 0x8f800000
	v_mul_f32_e32 v4, 0xcf800000, v5
	v_cmp_lt_f32_e32 vcc, s4, v5
	v_cndmask_b32_e64 v4, -v5, v4, vcc
	v_sqrt_f32_e32 v7, v4
	v_mul_f32_e32 v5, -2.0, v5
	s_mov_b32 s6, 0x40400000
	v_add_u32_e32 v8, -1, v7
	v_fma_f32 v9, -v8, v7, v4
	v_cmp_ge_f32_e64 s[4:5], 0, v9
	v_add_u32_e32 v9, 1, v7
	v_cndmask_b32_e64 v8, v7, v8, s[4:5]
	v_fma_f32 v7, -v9, v7, v4
	v_cmp_lt_f32_e64 s[4:5], 0, v7
	v_cndmask_b32_e64 v7, v8, v9, s[4:5]
	v_mul_f32_e32 v8, 0x37800000, v7
	v_cndmask_b32_e32 v7, v7, v8, vcc
	v_mov_b32_e32 v8, 0x260
	v_cmp_class_f32_e32 vcc, v4, v8
	v_cndmask_b32_e32 v4, v7, v4, vcc
	v_mul_f32_e32 v5, v5, v4
	v_div_scale_f32 v7, s[4:5], s6, s6, v5
	v_rcp_f32_e32 v8, v7
	s_brev_b32 s4, 18
	v_fma_f32 v9, -v7, v8, 1.0
	v_fmac_f32_e32 v8, v9, v8
	v_div_scale_f32 v9, vcc, v5, s6, v5
	v_mul_f32_e32 v10, v9, v8
	v_fma_f32 v11, -v7, v10, v9
	v_fmac_f32_e32 v10, v11, v8
	v_fma_f32 v7, -v7, v10, v9
	v_div_fmas_f32 v7, v7, v8, v10
	v_div_fixup_f32 v8, v7, s6, v5
	v_add_f32_e32 v5, 0x3f490fdb, v8
	v_and_b32_e32 v7, 0x7fffffff, v5
	v_cmp_nlt_f32_e64 s[24:25], |v5|, s4
	v_lshrrev_b32_e32 v13, 23, v7
                                        ; implicit-def: $vgpr9
                                        ; implicit-def: $vgpr10
	s_and_saveexec_b64 s[4:5], s[24:25]
	s_xor_b64 s[26:27], exec, s[4:5]
	s_cbranch_execz .LBB17_82
; %bb.81:
	v_add_u32_e32 v9, 0xffffff88, v13
	v_not_b32_e32 v10, 63
	v_cmp_lt_u32_e32 vcc, 63, v9
	v_cndmask_b32_e32 v10, 0, v10, vcc
	v_add_u32_e32 v9, v10, v9
	v_not_b32_e32 v10, 31
	v_cmp_lt_u32_e64 s[4:5], 31, v9
	v_cndmask_b32_e64 v12, 0, v10, s[4:5]
	v_add_u32_e32 v9, v12, v9
	v_cmp_lt_u32_e64 s[6:7], 31, v9
	v_cndmask_b32_e64 v10, 0, v10, s[6:7]
	v_add_u32_e32 v9, v10, v9
	v_and_b32_e32 v10, 0x7fffff, v7
	v_or_b32_e32 v12, 0x800000, v10
	s_mov_b32 s10, 0xfe5163ab
	v_mad_u64_u32 v[14:15], s[10:11], v12, s10, 0
	v_mov_b32_e32 v11, 0
	v_mov_b32_e32 v10, v15
	s_mov_b32 s10, 0x3c439041
	v_mad_u64_u32 v[16:17], s[10:11], v12, s10, v[10:11]
	v_mov_b32_e32 v10, v17
	s_mov_b32 s10, 0xdb629599
	v_mad_u64_u32 v[18:19], s[10:11], v12, s10, v[10:11]
	;; [unrolled: 3-line block ×6, first 2 shown]
	v_cndmask_b32_e32 v15, v24, v20, vcc
	v_cndmask_b32_e32 v10, v10, v22, vcc
	;; [unrolled: 1-line block ×3, first 2 shown]
	v_cndmask_b32_e64 v12, v10, v15, s[4:5]
	v_cndmask_b32_e64 v10, v11, v10, s[4:5]
	v_cndmask_b32_e32 v11, v22, v18, vcc
	v_cndmask_b32_e64 v15, v15, v11, s[4:5]
	v_cndmask_b32_e64 v10, v10, v12, s[6:7]
	;; [unrolled: 1-line block ×3, first 2 shown]
	v_sub_u32_e32 v17, 32, v9
	v_alignbit_b32 v19, v10, v12, v17
	v_cmp_eq_u32_e64 s[10:11], 0, v9
	v_cndmask_b32_e64 v9, v19, v10, s[10:11]
	v_cndmask_b32_e32 v10, v20, v16, vcc
	v_cndmask_b32_e64 v11, v11, v10, s[4:5]
	v_cndmask_b32_e64 v15, v15, v11, s[6:7]
	v_alignbit_b32 v16, v12, v15, v17
	v_cndmask_b32_e64 v12, v16, v12, s[10:11]
	v_bfe_u32 v20, v9, 29, 1
	v_cndmask_b32_e32 v14, v18, v14, vcc
	v_alignbit_b32 v16, v9, v12, 30
	v_sub_u32_e32 v21, 0, v20
	v_cndmask_b32_e64 v10, v10, v14, s[4:5]
	v_xor_b32_e32 v22, v16, v21
	v_cndmask_b32_e64 v10, v11, v10, s[6:7]
	v_alignbit_b32 v11, v15, v10, v17
	v_ffbh_u32_e32 v14, v22
	v_cndmask_b32_e64 v11, v11, v15, s[10:11]
	v_add_u32_e32 v14, 1, v14
	v_cmp_ne_u32_e32 vcc, v16, v21
	v_alignbit_b32 v12, v12, v11, 30
	v_cndmask_b32_e32 v14, 33, v14, vcc
	v_alignbit_b32 v10, v11, v10, 30
	v_xor_b32_e32 v12, v12, v21
	v_sub_u32_e32 v15, 32, v14
	v_xor_b32_e32 v10, v10, v21
	v_alignbit_b32 v16, v22, v12, v15
	v_alignbit_b32 v10, v12, v10, v15
	;; [unrolled: 1-line block ×3, first 2 shown]
	v_ffbh_u32_e32 v12, v11
	v_min_u32_e32 v12, 32, v12
	v_lshrrev_b32_e32 v19, 29, v9
	v_sub_u32_e32 v15, 31, v12
	v_alignbit_b32 v10, v11, v10, v15
	v_lshlrev_b32_e32 v11, 31, v19
	v_or_b32_e32 v15, 0x33800000, v11
	v_add_lshl_u32 v12, v12, v14, 23
	v_lshrrev_b32_e32 v10, 9, v10
	v_sub_u32_e32 v12, v15, v12
	v_or_b32_e32 v10, v12, v10
	v_alignbit_b32 v12, v14, v16, 9
	v_or_b32_e32 v11, v12, v11
	v_xor_b32_e32 v11, 1.0, v11
	s_mov_b32 s4, 0x3fc90fda
	v_mul_f32_e32 v12, 0x3fc90fda, v11
	v_fma_f32 v14, v11, s4, -v12
	v_fmac_f32_e32 v14, 0x33a22168, v11
	v_fmac_f32_e32 v14, 0x3fc90fda, v10
	v_lshrrev_b32_e32 v9, 30, v9
	v_add_f32_e32 v10, v12, v14
	v_add_u32_e32 v9, v20, v9
	s_andn2_saveexec_b64 s[4:5], s[26:27]
	s_branch .LBB17_83
.LBB17_82:
	s_andn2_saveexec_b64 s[4:5], s[26:27]
.LBB17_83:
	s_mov_b32 s6, 0x3f22f983
	v_mul_f32_e64 v9, |v5|, s6
	v_rndne_f32_e32 v11, v9
	s_mov_b32 s6, 0xbfc90fda
	v_cvt_i32_f32_e32 v9, v11
	v_fma_f32 v10, v11, s6, |v5|
	v_fmac_f32_e32 v10, 0xb3a22168, v11
	v_fmac_f32_e32 v10, 0xa7c234c4, v11
; %bb.84:
	s_or_b64 exec, exec, s[4:5]
                                        ; implicit-def: $vgpr11
                                        ; implicit-def: $vgpr12
	s_and_saveexec_b64 s[4:5], s[24:25]
	s_xor_b64 s[24:25], exec, s[4:5]
	s_cbranch_execz .LBB17_86
; %bb.85:
	v_add_u32_e32 v11, 0xffffff88, v13
	v_not_b32_e32 v12, 63
	v_cmp_lt_u32_e32 vcc, 63, v11
	v_cndmask_b32_e32 v12, 0, v12, vcc
	v_add_u32_e32 v11, v12, v11
	v_not_b32_e32 v12, 31
	v_cmp_lt_u32_e64 s[4:5], 31, v11
	v_cndmask_b32_e64 v14, 0, v12, s[4:5]
	v_add_u32_e32 v11, v14, v11
	v_cmp_lt_u32_e64 s[6:7], 31, v11
	v_cndmask_b32_e64 v12, 0, v12, s[6:7]
	v_add_u32_e32 v11, v12, v11
	v_and_b32_e32 v12, 0x7fffff, v7
	v_or_b32_e32 v26, 0x800000, v12
	s_mov_b32 s10, 0xfe5163ab
	v_mad_u64_u32 v[14:15], s[10:11], v26, s10, 0
	v_mov_b32_e32 v13, 0
	v_mov_b32_e32 v12, v15
	s_mov_b32 s10, 0x3c439041
	v_mad_u64_u32 v[16:17], s[10:11], v26, s10, v[12:13]
	v_mov_b32_e32 v12, v17
	s_mov_b32 s10, 0xdb629599
	v_mad_u64_u32 v[18:19], s[10:11], v26, s10, v[12:13]
	;; [unrolled: 3-line block ×6, first 2 shown]
	v_cndmask_b32_e32 v15, v24, v20, vcc
	v_cndmask_b32_e32 v12, v12, v22, vcc
	;; [unrolled: 1-line block ×3, first 2 shown]
	v_cndmask_b32_e64 v17, v12, v15, s[4:5]
	v_cndmask_b32_e64 v12, v13, v12, s[4:5]
	v_cndmask_b32_e32 v13, v22, v18, vcc
	v_cndmask_b32_e64 v15, v15, v13, s[4:5]
	v_cndmask_b32_e64 v12, v12, v17, s[6:7]
	;; [unrolled: 1-line block ×3, first 2 shown]
	v_sub_u32_e32 v19, 32, v11
	v_alignbit_b32 v21, v12, v17, v19
	v_cmp_eq_u32_e64 s[10:11], 0, v11
	v_cndmask_b32_e64 v11, v21, v12, s[10:11]
	v_cndmask_b32_e32 v12, v20, v16, vcc
	v_cndmask_b32_e64 v13, v13, v12, s[4:5]
	v_cndmask_b32_e64 v15, v15, v13, s[6:7]
	v_alignbit_b32 v16, v17, v15, v19
	v_cndmask_b32_e32 v14, v18, v14, vcc
	v_cndmask_b32_e64 v16, v16, v17, s[10:11]
	v_bfe_u32 v21, v11, 29, 1
	v_cndmask_b32_e64 v12, v12, v14, s[4:5]
	v_alignbit_b32 v17, v11, v16, 30
	v_sub_u32_e32 v22, 0, v21
	v_cndmask_b32_e64 v12, v13, v12, s[6:7]
	v_xor_b32_e32 v23, v17, v22
	v_alignbit_b32 v13, v15, v12, v19
	v_cndmask_b32_e64 v13, v13, v15, s[10:11]
	v_ffbh_u32_e32 v15, v23
	v_add_u32_e32 v15, 1, v15
	v_cmp_ne_u32_e32 vcc, v17, v22
	v_alignbit_b32 v14, v16, v13, 30
	v_cndmask_b32_e32 v15, 33, v15, vcc
	v_alignbit_b32 v12, v13, v12, 30
	v_xor_b32_e32 v14, v14, v22
	v_sub_u32_e32 v16, 32, v15
	v_xor_b32_e32 v12, v12, v22
	v_alignbit_b32 v17, v23, v14, v16
	v_alignbit_b32 v12, v14, v12, v16
	;; [unrolled: 1-line block ×3, first 2 shown]
	v_ffbh_u32_e32 v14, v13
	v_min_u32_e32 v14, 32, v14
	v_lshrrev_b32_e32 v20, 29, v11
	v_sub_u32_e32 v16, 31, v14
	v_alignbit_b32 v12, v13, v12, v16
	v_lshlrev_b32_e32 v13, 31, v20
	v_or_b32_e32 v16, 0x33800000, v13
	v_add_lshl_u32 v14, v14, v15, 23
	v_lshrrev_b32_e32 v12, 9, v12
	v_sub_u32_e32 v14, v16, v14
	v_or_b32_e32 v12, v14, v12
	v_alignbit_b32 v14, v15, v17, 9
	v_or_b32_e32 v13, v14, v13
	v_xor_b32_e32 v13, 1.0, v13
	s_mov_b32 s4, 0x3fc90fda
	v_mul_f32_e32 v14, 0x3fc90fda, v13
	v_fma_f32 v15, v13, s4, -v14
	v_fmac_f32_e32 v15, 0x33a22168, v13
	v_fmac_f32_e32 v15, 0x3fc90fda, v12
	v_lshrrev_b32_e32 v11, 30, v11
	v_add_f32_e32 v12, v14, v15
	v_add_u32_e32 v11, v21, v11
	s_andn2_saveexec_b64 s[4:5], s[24:25]
	s_cbranch_execnz .LBB17_87
	s_branch .LBB17_88
.LBB17_86:
	s_andn2_saveexec_b64 s[4:5], s[24:25]
.LBB17_87:
	s_mov_b32 s6, 0x3f22f983
	v_mul_f32_e64 v11, |v5|, s6
	v_rndne_f32_e32 v13, v11
	s_mov_b32 s6, 0xbfc90fda
	v_cvt_i32_f32_e32 v11, v13
	v_fma_f32 v12, v13, s6, |v5|
	v_fmac_f32_e32 v12, 0xb3a22168, v13
	v_fmac_f32_e32 v12, 0xa7c234c4, v13
.LBB17_88:
	s_or_b64 exec, exec, s[4:5]
	v_div_scale_f32 v13, s[4:5], v8, v8, 1.0
	v_rcp_f32_e32 v14, v13
	v_div_scale_f32 v15, vcc, 1.0, v8, 1.0
	v_mov_b32_e32 v20, 0xbab64f3b
	v_fma_f32 v16, -v13, v14, 1.0
	v_fmac_f32_e32 v14, v16, v14
	v_mul_f32_e32 v16, v15, v14
	v_fma_f32 v17, -v13, v16, v15
	v_fmac_f32_e32 v16, v17, v14
	v_fma_f32 v13, -v13, v16, v15
	v_div_fmas_f32 v13, v13, v14, v16
	v_div_fixup_f32 v8, v13, v8, 1.0
	v_mul_f32_e32 v13, v8, v8
	v_mov_b32_e32 v14, 0xbe06db67
	v_fmac_f32_e32 v14, 0, v13
	v_mov_b32_e32 v15, 0xbf205f75
	v_fmac_f32_e32 v15, v13, v14
	;; [unrolled: 2-line block ×18, first 2 shown]
	v_mul_f32_e32 v15, v10, v10
	v_mov_b32_e32 v18, 0x3c0881c4
	v_fmac_f32_e32 v20, 0x37d75334, v15
	v_mov_b32_e32 v21, 0x3d2aabf7
	v_fmac_f32_e32 v18, 0xb94c1982, v15
	v_mov_b32_e32 v19, 0xbe2aaa9d
	v_fma_f32 v20, v15, v20, v21
	v_mov_b32_e32 v22, 0xbf000004
	v_fma_f32 v18, v15, v18, v19
	v_fma_f32 v20, v15, v20, v22
	v_mul_f32_e32 v18, v15, v18
	v_fma_f32 v15, v15, v20, 1.0
	v_and_b32_e32 v20, 1, v9
	v_lshlrev_b32_e32 v9, 30, v9
	v_fmac_f32_e32 v10, v10, v18
	v_cmp_eq_u32_e32 vcc, 0, v20
	v_and_b32_e32 v9, 0x80000000, v9
	v_xor_b32_e32 v7, v7, v5
	v_cndmask_b32_e32 v10, v15, v10, vcc
	v_xor_b32_e32 v7, v7, v9
	v_mul_f32_e32 v9, v13, v16
	v_xor_b32_e32 v7, v7, v10
	v_div_scale_f32 v10, s[4:5], v14, v14, v9
	v_rcp_f32_e32 v15, v10
	s_movk_i32 s6, 0x1f8
	v_mov_b32_e32 v16, 0x7fc00000
	v_cmp_class_f32_e64 s[4:5], v5, s6
	v_cndmask_b32_e64 v5, v16, v7, s[4:5]
	v_fma_f32 v7, -v10, v15, 1.0
	v_fmac_f32_e32 v15, v7, v15
	v_div_scale_f32 v7, vcc, v9, v14, v9
	v_mul_f32_e32 v20, v7, v15
	v_fma_f32 v23, -v10, v20, v7
	v_fmac_f32_e32 v20, v23, v15
	v_fma_f32 v7, -v10, v20, v7
	v_div_fmas_f32 v7, v7, v15, v20
	v_div_fixup_f32 v7, v7, v14, v9
	v_mov_b32_e32 v9, 0x3ca1a92f
	v_fmac_f32_e32 v9, 0, v13
	v_mov_b32_e32 v10, 0x3ec83ea8
	v_fmac_f32_e32 v10, v13, v9
	;; [unrolled: 2-line block ×17, first 2 shown]
	v_mov_b32_e32 v10, 0x3b873823
	s_mov_b32 s6, 0xf800000
	v_fmac_f32_e32 v10, v13, v14
	v_mul_f32_e32 v14, 0x4f800000, v4
	v_cmp_gt_f32_e32 vcc, s6, v4
	v_cndmask_b32_e32 v4, v4, v14, vcc
	v_sqrt_f32_e32 v14, v4
	s_mov_b32 s10, 0x3f106ebb
	v_mov_b32_e32 v15, 0x38d45b0f
	v_fmac_f32_e32 v15, v13, v10
	v_add_u32_e32 v20, -1, v14
	v_fma_f32 v23, -v20, v14, v4
	v_cmp_ge_f32_e64 s[6:7], 0, v23
	v_add_u32_e32 v23, 1, v14
	v_cndmask_b32_e64 v20, v14, v20, s[6:7]
	v_fma_f32 v14, -v23, v14, v4
	v_cmp_lt_f32_e64 s[6:7], 0, v14
	v_cndmask_b32_e64 v14, v20, v23, s[6:7]
	v_mul_f32_e32 v20, 0x37800000, v14
	v_cndmask_b32_e32 v14, v14, v20, vcc
	v_mov_b32_e32 v20, 0x260
	v_cmp_class_f32_e32 vcc, v4, v20
	v_cndmask_b32_e32 v4, v14, v4, vcc
	v_div_scale_f32 v14, s[6:7], v4, v4, s10
	v_rcp_f32_e32 v20, v14
	v_mov_b32_e32 v10, 0x359d422f
	v_fmac_f32_e32 v10, v13, v15
	v_mov_b32_e32 v15, 0x31a8fe3a
	v_fmac_f32_e32 v15, v13, v10
	v_fma_f32 v10, -v14, v20, 1.0
	v_fmac_f32_e32 v20, v10, v20
	v_div_scale_f32 v10, vcc, s10, v4, s10
	v_mul_f32_e32 v13, v10, v20
	v_fma_f32 v23, -v14, v13, v10
	v_fmac_f32_e32 v13, v23, v20
	v_fma_f32 v10, -v14, v13, v10
	v_div_fmas_f32 v10, v10, v20, v13
	v_mov_b32_e32 v17, 0x3c0881c4
	v_div_fixup_f32 v4, v10, v4, s10
	v_mul_f32_e32 v10, v12, v12
	v_mov_b32_e32 v18, 0xbab64f3b
	v_fmac_f32_e32 v17, 0xb94c1982, v10
	v_fmac_f32_e32 v19, v10, v17
	;; [unrolled: 1-line block ×3, first 2 shown]
	v_mul_f32_e32 v13, v10, v19
	v_fmac_f32_e32 v21, v10, v18
	v_fmac_f32_e32 v12, v12, v13
	;; [unrolled: 1-line block ×3, first 2 shown]
	v_and_b32_e32 v13, 1, v11
	v_mul_f32_e32 v8, v8, v9
	v_fma_f32 v10, v10, v22, 1.0
	v_cmp_eq_u32_e32 vcc, 0, v13
	v_div_scale_f32 v9, s[6:7], v15, v15, v8
	v_cndmask_b32_e64 v10, -v12, v10, vcc
	v_rcp_f32_e32 v12, v9
	v_lshlrev_b32_e32 v11, 30, v11
	v_and_b32_e32 v11, 0x80000000, v11
	v_xor_b32_e32 v10, v11, v10
	v_fma_f32 v11, -v9, v12, 1.0
	v_fmac_f32_e32 v12, v11, v12
	v_div_scale_f32 v11, vcc, v8, v15, v8
	v_mul_f32_e32 v13, v11, v12
	v_fma_f32 v14, -v9, v13, v11
	v_fmac_f32_e32 v13, v14, v12
	v_fma_f32 v9, -v9, v13, v11
	v_div_fmas_f32 v9, v9, v12, v13
	v_cndmask_b32_e64 v10, v16, v10, s[4:5]
	v_div_fixup_f32 v8, v9, v15, v8
	v_add_f32_e32 v7, 1.0, v7
	v_mul_f32_e32 v8, v8, v10
	v_fma_f32 v5, v7, v5, -v8
	v_mul_f32_e32 v7, v4, v5
.LBB17_89:
	s_or_b64 exec, exec, s[22:23]
.LBB17_90:
	s_or_b64 exec, exec, s[20:21]
.LBB17_91:
	s_or_b64 exec, exec, s[14:15]
	s_add_u32 s4, s16, s12
	s_addc_u32 s5, s17, s13
	global_store_dwordx2 v1, v[2:3], s[4:5]
	global_store_dwordx2 v1, v[6:7], s[4:5] offset:2048
.LBB17_92:
	s_endpgm
	.section	.rodata,"a",@progbits
	.p2align	6, 0x0
	.amdhsa_kernel _ZN2at6native29vectorized_elementwise_kernelILi2EZZZNS0_12_GLOBAL__N_119airy_ai_kernel_cudaERNS_18TensorIteratorBaseEENKUlvE_clEvENKUlvE0_clEvEUlfE_St5arrayIPcLm2EEEEviT0_T1_
		.amdhsa_group_segment_fixed_size 0
		.amdhsa_private_segment_fixed_size 0
		.amdhsa_kernarg_size 24
		.amdhsa_user_sgpr_count 8
		.amdhsa_user_sgpr_private_segment_buffer 1
		.amdhsa_user_sgpr_dispatch_ptr 0
		.amdhsa_user_sgpr_queue_ptr 0
		.amdhsa_user_sgpr_kernarg_segment_ptr 1
		.amdhsa_user_sgpr_dispatch_id 0
		.amdhsa_user_sgpr_flat_scratch_init 1
		.amdhsa_user_sgpr_kernarg_preload_length 0
		.amdhsa_user_sgpr_kernarg_preload_offset 0
		.amdhsa_user_sgpr_private_segment_size 0
		.amdhsa_uses_dynamic_stack 0
		.amdhsa_system_sgpr_private_segment_wavefront_offset 0
		.amdhsa_system_sgpr_workgroup_id_x 1
		.amdhsa_system_sgpr_workgroup_id_y 0
		.amdhsa_system_sgpr_workgroup_id_z 0
		.amdhsa_system_sgpr_workgroup_info 0
		.amdhsa_system_vgpr_workitem_id 0
		.amdhsa_next_free_vgpr 34
		.amdhsa_next_free_sgpr 33
		.amdhsa_accum_offset 36
		.amdhsa_reserve_vcc 1
		.amdhsa_reserve_flat_scratch 1
		.amdhsa_float_round_mode_32 0
		.amdhsa_float_round_mode_16_64 0
		.amdhsa_float_denorm_mode_32 3
		.amdhsa_float_denorm_mode_16_64 3
		.amdhsa_dx10_clamp 1
		.amdhsa_ieee_mode 1
		.amdhsa_fp16_overflow 0
		.amdhsa_tg_split 0
		.amdhsa_exception_fp_ieee_invalid_op 0
		.amdhsa_exception_fp_denorm_src 0
		.amdhsa_exception_fp_ieee_div_zero 0
		.amdhsa_exception_fp_ieee_overflow 0
		.amdhsa_exception_fp_ieee_underflow 0
		.amdhsa_exception_fp_ieee_inexact 0
		.amdhsa_exception_int_div_zero 0
	.end_amdhsa_kernel
	.section	.text._ZN2at6native29vectorized_elementwise_kernelILi2EZZZNS0_12_GLOBAL__N_119airy_ai_kernel_cudaERNS_18TensorIteratorBaseEENKUlvE_clEvENKUlvE0_clEvEUlfE_St5arrayIPcLm2EEEEviT0_T1_,"axG",@progbits,_ZN2at6native29vectorized_elementwise_kernelILi2EZZZNS0_12_GLOBAL__N_119airy_ai_kernel_cudaERNS_18TensorIteratorBaseEENKUlvE_clEvENKUlvE0_clEvEUlfE_St5arrayIPcLm2EEEEviT0_T1_,comdat
.Lfunc_end17:
	.size	_ZN2at6native29vectorized_elementwise_kernelILi2EZZZNS0_12_GLOBAL__N_119airy_ai_kernel_cudaERNS_18TensorIteratorBaseEENKUlvE_clEvENKUlvE0_clEvEUlfE_St5arrayIPcLm2EEEEviT0_T1_, .Lfunc_end17-_ZN2at6native29vectorized_elementwise_kernelILi2EZZZNS0_12_GLOBAL__N_119airy_ai_kernel_cudaERNS_18TensorIteratorBaseEENKUlvE_clEvENKUlvE0_clEvEUlfE_St5arrayIPcLm2EEEEviT0_T1_
                                        ; -- End function
	.section	.AMDGPU.csdata,"",@progbits
; Kernel info:
; codeLenInByte = 17232
; NumSgprs: 39
; NumVgprs: 34
; NumAgprs: 0
; TotalNumVgprs: 34
; ScratchSize: 0
; MemoryBound: 0
; FloatMode: 240
; IeeeMode: 1
; LDSByteSize: 0 bytes/workgroup (compile time only)
; SGPRBlocks: 4
; VGPRBlocks: 4
; NumSGPRsForWavesPerEU: 39
; NumVGPRsForWavesPerEU: 34
; AccumOffset: 36
; Occupancy: 8
; WaveLimiterHint : 1
; COMPUTE_PGM_RSRC2:SCRATCH_EN: 0
; COMPUTE_PGM_RSRC2:USER_SGPR: 8
; COMPUTE_PGM_RSRC2:TRAP_HANDLER: 0
; COMPUTE_PGM_RSRC2:TGID_X_EN: 1
; COMPUTE_PGM_RSRC2:TGID_Y_EN: 0
; COMPUTE_PGM_RSRC2:TGID_Z_EN: 0
; COMPUTE_PGM_RSRC2:TIDIG_COMP_CNT: 0
; COMPUTE_PGM_RSRC3_GFX90A:ACCUM_OFFSET: 8
; COMPUTE_PGM_RSRC3_GFX90A:TG_SPLIT: 0
	.section	.text._ZN2at6native27unrolled_elementwise_kernelIZZZNS0_12_GLOBAL__N_119airy_ai_kernel_cudaERNS_18TensorIteratorBaseEENKUlvE_clEvENKUlvE0_clEvEUlfE_St5arrayIPcLm2EELi4E23TrivialOffsetCalculatorILi1EjESC_NS0_6memory15LoadWithoutCastENSD_16StoreWithoutCastEEEviT_T0_T2_T3_T4_T5_,"axG",@progbits,_ZN2at6native27unrolled_elementwise_kernelIZZZNS0_12_GLOBAL__N_119airy_ai_kernel_cudaERNS_18TensorIteratorBaseEENKUlvE_clEvENKUlvE0_clEvEUlfE_St5arrayIPcLm2EELi4E23TrivialOffsetCalculatorILi1EjESC_NS0_6memory15LoadWithoutCastENSD_16StoreWithoutCastEEEviT_T0_T2_T3_T4_T5_,comdat
	.globl	_ZN2at6native27unrolled_elementwise_kernelIZZZNS0_12_GLOBAL__N_119airy_ai_kernel_cudaERNS_18TensorIteratorBaseEENKUlvE_clEvENKUlvE0_clEvEUlfE_St5arrayIPcLm2EELi4E23TrivialOffsetCalculatorILi1EjESC_NS0_6memory15LoadWithoutCastENSD_16StoreWithoutCastEEEviT_T0_T2_T3_T4_T5_ ; -- Begin function _ZN2at6native27unrolled_elementwise_kernelIZZZNS0_12_GLOBAL__N_119airy_ai_kernel_cudaERNS_18TensorIteratorBaseEENKUlvE_clEvENKUlvE0_clEvEUlfE_St5arrayIPcLm2EELi4E23TrivialOffsetCalculatorILi1EjESC_NS0_6memory15LoadWithoutCastENSD_16StoreWithoutCastEEEviT_T0_T2_T3_T4_T5_
	.p2align	8
	.type	_ZN2at6native27unrolled_elementwise_kernelIZZZNS0_12_GLOBAL__N_119airy_ai_kernel_cudaERNS_18TensorIteratorBaseEENKUlvE_clEvENKUlvE0_clEvEUlfE_St5arrayIPcLm2EELi4E23TrivialOffsetCalculatorILi1EjESC_NS0_6memory15LoadWithoutCastENSD_16StoreWithoutCastEEEviT_T0_T2_T3_T4_T5_,@function
_ZN2at6native27unrolled_elementwise_kernelIZZZNS0_12_GLOBAL__N_119airy_ai_kernel_cudaERNS_18TensorIteratorBaseEENKUlvE_clEvENKUlvE0_clEvEUlfE_St5arrayIPcLm2EELi4E23TrivialOffsetCalculatorILi1EjESC_NS0_6memory15LoadWithoutCastENSD_16StoreWithoutCastEEEviT_T0_T2_T3_T4_T5_: ; @_ZN2at6native27unrolled_elementwise_kernelIZZZNS0_12_GLOBAL__N_119airy_ai_kernel_cudaERNS_18TensorIteratorBaseEENKUlvE_clEvENKUlvE0_clEvEUlfE_St5arrayIPcLm2EELi4E23TrivialOffsetCalculatorILi1EjESC_NS0_6memory15LoadWithoutCastENSD_16StoreWithoutCastEEEviT_T0_T2_T3_T4_T5_
; %bb.0:
	s_add_u32 flat_scratch_lo, s6, s9
	s_load_dword s6, s[4:5], 0x0
	s_load_dwordx4 s[16:19], s[4:5], 0x8
	s_addc_u32 flat_scratch_hi, s7, 0
	s_add_u32 s0, s0, s9
	s_addc_u32 s1, s1, 0
	s_lshl_b32 s4, s8, 10
	s_waitcnt lgkmcnt(0)
	s_sub_i32 s6, s6, s4
	s_mov_b32 s12, s8
	v_mov_b32_e32 v31, v0
	v_mov_b32_e32 v0, s16
	;; [unrolled: 1-line block ×6, first 2 shown]
	s_mov_b32 s32, 0
	s_getpc_b64 s[4:5]
	s_add_u32 s4, s4, _ZN2at6native25elementwise_kernel_helperILb0EZZZNS0_12_GLOBAL__N_119airy_ai_kernel_cudaERNS_18TensorIteratorBaseEENKUlvE_clEvENKUlvE0_clEvEUlfE_NS0_6memory8policies11unroll_baseILi256ESt5arrayIPcLm2EE23TrivialOffsetCalculatorILi1EjESF_NS8_15LoadWithoutCastENS8_16StoreWithoutCastELi4ELi1EEEEEvT0_T1_@rel32@lo+4
	s_addc_u32 s5, s5, _ZN2at6native25elementwise_kernel_helperILb0EZZZNS0_12_GLOBAL__N_119airy_ai_kernel_cudaERNS_18TensorIteratorBaseEENKUlvE_clEvENKUlvE0_clEvEUlfE_NS0_6memory8policies11unroll_baseILi256ESt5arrayIPcLm2EE23TrivialOffsetCalculatorILi1EjESF_NS8_15LoadWithoutCastENS8_16StoreWithoutCastELi4ELi1EEEEEvT0_T1_@rel32@hi+12
	s_swappc_b64 s[30:31], s[4:5]
	s_endpgm
	.section	.rodata,"a",@progbits
	.p2align	6, 0x0
	.amdhsa_kernel _ZN2at6native27unrolled_elementwise_kernelIZZZNS0_12_GLOBAL__N_119airy_ai_kernel_cudaERNS_18TensorIteratorBaseEENKUlvE_clEvENKUlvE0_clEvEUlfE_St5arrayIPcLm2EELi4E23TrivialOffsetCalculatorILi1EjESC_NS0_6memory15LoadWithoutCastENSD_16StoreWithoutCastEEEviT_T0_T2_T3_T4_T5_
		.amdhsa_group_segment_fixed_size 0
		.amdhsa_private_segment_fixed_size 0
		.amdhsa_kernarg_size 28
		.amdhsa_user_sgpr_count 8
		.amdhsa_user_sgpr_private_segment_buffer 1
		.amdhsa_user_sgpr_dispatch_ptr 0
		.amdhsa_user_sgpr_queue_ptr 0
		.amdhsa_user_sgpr_kernarg_segment_ptr 1
		.amdhsa_user_sgpr_dispatch_id 0
		.amdhsa_user_sgpr_flat_scratch_init 1
		.amdhsa_user_sgpr_kernarg_preload_length 0
		.amdhsa_user_sgpr_kernarg_preload_offset 0
		.amdhsa_user_sgpr_private_segment_size 0
		.amdhsa_uses_dynamic_stack 0
		.amdhsa_system_sgpr_private_segment_wavefront_offset 0
		.amdhsa_system_sgpr_workgroup_id_x 1
		.amdhsa_system_sgpr_workgroup_id_y 0
		.amdhsa_system_sgpr_workgroup_id_z 0
		.amdhsa_system_sgpr_workgroup_info 0
		.amdhsa_system_vgpr_workitem_id 0
		.amdhsa_next_free_vgpr 34
		.amdhsa_next_free_sgpr 33
		.amdhsa_accum_offset 36
		.amdhsa_reserve_vcc 1
		.amdhsa_reserve_flat_scratch 1
		.amdhsa_float_round_mode_32 0
		.amdhsa_float_round_mode_16_64 0
		.amdhsa_float_denorm_mode_32 3
		.amdhsa_float_denorm_mode_16_64 3
		.amdhsa_dx10_clamp 1
		.amdhsa_ieee_mode 1
		.amdhsa_fp16_overflow 0
		.amdhsa_tg_split 0
		.amdhsa_exception_fp_ieee_invalid_op 0
		.amdhsa_exception_fp_denorm_src 0
		.amdhsa_exception_fp_ieee_div_zero 0
		.amdhsa_exception_fp_ieee_overflow 0
		.amdhsa_exception_fp_ieee_underflow 0
		.amdhsa_exception_fp_ieee_inexact 0
		.amdhsa_exception_int_div_zero 0
	.end_amdhsa_kernel
	.section	.text._ZN2at6native27unrolled_elementwise_kernelIZZZNS0_12_GLOBAL__N_119airy_ai_kernel_cudaERNS_18TensorIteratorBaseEENKUlvE_clEvENKUlvE0_clEvEUlfE_St5arrayIPcLm2EELi4E23TrivialOffsetCalculatorILi1EjESC_NS0_6memory15LoadWithoutCastENSD_16StoreWithoutCastEEEviT_T0_T2_T3_T4_T5_,"axG",@progbits,_ZN2at6native27unrolled_elementwise_kernelIZZZNS0_12_GLOBAL__N_119airy_ai_kernel_cudaERNS_18TensorIteratorBaseEENKUlvE_clEvENKUlvE0_clEvEUlfE_St5arrayIPcLm2EELi4E23TrivialOffsetCalculatorILi1EjESC_NS0_6memory15LoadWithoutCastENSD_16StoreWithoutCastEEEviT_T0_T2_T3_T4_T5_,comdat
.Lfunc_end18:
	.size	_ZN2at6native27unrolled_elementwise_kernelIZZZNS0_12_GLOBAL__N_119airy_ai_kernel_cudaERNS_18TensorIteratorBaseEENKUlvE_clEvENKUlvE0_clEvEUlfE_St5arrayIPcLm2EELi4E23TrivialOffsetCalculatorILi1EjESC_NS0_6memory15LoadWithoutCastENSD_16StoreWithoutCastEEEviT_T0_T2_T3_T4_T5_, .Lfunc_end18-_ZN2at6native27unrolled_elementwise_kernelIZZZNS0_12_GLOBAL__N_119airy_ai_kernel_cudaERNS_18TensorIteratorBaseEENKUlvE_clEvENKUlvE0_clEvEUlfE_St5arrayIPcLm2EELi4E23TrivialOffsetCalculatorILi1EjESC_NS0_6memory15LoadWithoutCastENSD_16StoreWithoutCastEEEviT_T0_T2_T3_T4_T5_
                                        ; -- End function
	.section	.AMDGPU.csdata,"",@progbits
; Kernel info:
; codeLenInByte = 104
; NumSgprs: 39
; NumVgprs: 34
; NumAgprs: 0
; TotalNumVgprs: 34
; ScratchSize: 0
; MemoryBound: 0
; FloatMode: 240
; IeeeMode: 1
; LDSByteSize: 0 bytes/workgroup (compile time only)
; SGPRBlocks: 4
; VGPRBlocks: 4
; NumSGPRsForWavesPerEU: 39
; NumVGPRsForWavesPerEU: 34
; AccumOffset: 36
; Occupancy: 8
; WaveLimiterHint : 0
; COMPUTE_PGM_RSRC2:SCRATCH_EN: 0
; COMPUTE_PGM_RSRC2:USER_SGPR: 8
; COMPUTE_PGM_RSRC2:TRAP_HANDLER: 0
; COMPUTE_PGM_RSRC2:TGID_X_EN: 1
; COMPUTE_PGM_RSRC2:TGID_Y_EN: 0
; COMPUTE_PGM_RSRC2:TGID_Z_EN: 0
; COMPUTE_PGM_RSRC2:TIDIG_COMP_CNT: 0
; COMPUTE_PGM_RSRC3_GFX90A:ACCUM_OFFSET: 8
; COMPUTE_PGM_RSRC3_GFX90A:TG_SPLIT: 0
	.section	.text._ZN2at6native32elementwise_kernel_manual_unrollILi128ELi4EZNS0_22gpu_kernel_impl_nocastIZZZNS0_12_GLOBAL__N_119airy_ai_kernel_cudaERNS_18TensorIteratorBaseEENKUlvE_clEvENKUlvE0_clEvEUlfE_EEvS5_RKT_EUlibE_EEviT1_,"axG",@progbits,_ZN2at6native32elementwise_kernel_manual_unrollILi128ELi4EZNS0_22gpu_kernel_impl_nocastIZZZNS0_12_GLOBAL__N_119airy_ai_kernel_cudaERNS_18TensorIteratorBaseEENKUlvE_clEvENKUlvE0_clEvEUlfE_EEvS5_RKT_EUlibE_EEviT1_,comdat
	.globl	_ZN2at6native32elementwise_kernel_manual_unrollILi128ELi4EZNS0_22gpu_kernel_impl_nocastIZZZNS0_12_GLOBAL__N_119airy_ai_kernel_cudaERNS_18TensorIteratorBaseEENKUlvE_clEvENKUlvE0_clEvEUlfE_EEvS5_RKT_EUlibE_EEviT1_ ; -- Begin function _ZN2at6native32elementwise_kernel_manual_unrollILi128ELi4EZNS0_22gpu_kernel_impl_nocastIZZZNS0_12_GLOBAL__N_119airy_ai_kernel_cudaERNS_18TensorIteratorBaseEENKUlvE_clEvENKUlvE0_clEvEUlfE_EEvS5_RKT_EUlibE_EEviT1_
	.p2align	8
	.type	_ZN2at6native32elementwise_kernel_manual_unrollILi128ELi4EZNS0_22gpu_kernel_impl_nocastIZZZNS0_12_GLOBAL__N_119airy_ai_kernel_cudaERNS_18TensorIteratorBaseEENKUlvE_clEvENKUlvE0_clEvEUlfE_EEvS5_RKT_EUlibE_EEviT1_,@function
_ZN2at6native32elementwise_kernel_manual_unrollILi128ELi4EZNS0_22gpu_kernel_impl_nocastIZZZNS0_12_GLOBAL__N_119airy_ai_kernel_cudaERNS_18TensorIteratorBaseEENKUlvE_clEvENKUlvE0_clEvEUlfE_EEvS5_RKT_EUlibE_EEviT1_: ; @_ZN2at6native32elementwise_kernel_manual_unrollILi128ELi4EZNS0_22gpu_kernel_impl_nocastIZZZNS0_12_GLOBAL__N_119airy_ai_kernel_cudaERNS_18TensorIteratorBaseEENKUlvE_clEvENKUlvE0_clEvEUlfE_EEvS5_RKT_EUlibE_EEviT1_
; %bb.0:
	s_load_dword s57, s[4:5], 0x0
	s_load_dword s33, s[4:5], 0x8
	s_or_b32 s4, s4, 8
	v_lshl_or_b32 v8, s6, 9, v0
	v_or_b32_e32 v9, 0x180, v8
	s_waitcnt lgkmcnt(0)
	v_cmp_le_i32_e32 vcc, s57, v9
	s_add_i32 s56, s33, -1
	s_cmp_gt_u32 s56, 1
	s_cselect_b64 s[34:35], -1, 0
	s_and_saveexec_b64 s[0:1], vcc
	s_xor_b64 s[40:41], exec, s[0:1]
	s_cbranch_execz .LBB19_8
; %bb.1:
	s_load_dwordx4 s[36:39], s[4:5], 0x4
	s_load_dwordx2 s[42:43], s[4:5], 0x14
	s_load_dwordx4 s[28:31], s[4:5], 0xc4
	s_load_dwordx4 s[24:27], s[4:5], 0x148
	s_cmp_lg_u32 s33, 0
	s_cselect_b64 s[48:49], -1, 0
	s_add_u32 s46, s4, 0xc4
	s_addc_u32 s47, s5, 0
	s_min_u32 s58, s56, 15
	s_cmp_gt_u32 s33, 1
	s_cselect_b64 s[44:45], -1, 0
	v_cmp_gt_i32_e32 vcc, s57, v8
	s_and_saveexec_b64 s[50:51], vcc
	s_cbranch_execz .LBB19_16
; %bb.2:
	s_andn2_b64 vcc, exec, s[34:35]
	s_cbranch_vccnz .LBB19_24
; %bb.3:
	s_mov_b32 s6, 0
	s_andn2_b64 vcc, exec, s[48:49]
	v_mov_b32_e32 v2, 0
	v_mov_b32_e32 v0, 0
	s_cbranch_vccnz .LBB19_168
; %bb.4:
	s_add_i32 s59, s58, 1
	s_cmp_eq_u32 s56, 2
	s_cbranch_scc1 .LBB19_163
; %bb.5:
	s_and_b32 s6, s59, 28
	s_mov_b32 s7, 0
	v_mov_b32_e32 v0, 0
	s_mov_b64 s[52:53], s[4:5]
	s_mov_b64 s[54:55], s[46:47]
	v_mov_b32_e32 v3, v8
	v_mov_b32_e32 v2, 0
.LBB19_6:                               ; =>This Inner Loop Header: Depth=1
	s_load_dwordx8 s[16:23], s[52:53], 0x4
	s_load_dwordx4 s[0:3], s[52:53], 0x24
	s_load_dwordx8 s[8:15], s[54:55], 0x0
	s_add_u32 s52, s52, 48
	s_addc_u32 s53, s53, 0
	s_waitcnt lgkmcnt(0)
	v_mul_hi_u32 v1, s17, v3
	v_add_u32_e32 v1, v3, v1
	v_lshrrev_b32_e32 v1, s18, v1
	v_mul_lo_u32 v4, v1, s16
	v_mul_hi_u32 v5, s20, v1
	v_sub_u32_e32 v3, v3, v4
	v_add_u32_e32 v4, v1, v5
	v_lshrrev_b32_e32 v4, s21, v4
	v_mul_lo_u32 v6, v4, s19
	v_mul_hi_u32 v7, s23, v4
	v_sub_u32_e32 v1, v1, v6
	v_add_u32_e32 v6, v4, v7
	v_mul_lo_u32 v5, v3, s9
	v_mul_lo_u32 v3, v3, s8
	;; [unrolled: 1-line block ×4, first 2 shown]
	v_lshrrev_b32_e32 v6, s0, v6
	v_add3_u32 v0, v3, v0, v1
	v_mul_hi_u32 v3, s2, v6
	v_add_u32_e32 v3, v6, v3
	v_lshrrev_b32_e32 v3, s3, v3
	s_add_i32 s7, s7, 4
	v_add3_u32 v1, v5, v2, v7
	v_mul_lo_u32 v2, v6, s22
	v_mul_lo_u32 v5, v3, s1
	s_add_u32 s54, s54, 32
	v_sub_u32_e32 v2, v4, v2
	v_sub_u32_e32 v5, v6, v5
	s_addc_u32 s55, s55, 0
	v_mul_lo_u32 v4, v2, s12
	v_mul_lo_u32 v2, v2, s13
	;; [unrolled: 1-line block ×4, first 2 shown]
	s_cmp_lg_u32 s6, s7
	v_add3_u32 v2, v2, v1, v5
	v_add3_u32 v0, v4, v0, v6
	s_cbranch_scc1 .LBB19_6
; %bb.7:
	v_mov_b32_e32 v1, v2
	s_branch .LBB19_164
.LBB19_8:
	s_andn2_saveexec_b64 s[0:1], s[40:41]
	s_cbranch_execz .LBB19_256
.LBB19_9:
	v_cndmask_b32_e64 v0, 0, 1, s[34:35]
	v_cmp_ne_u32_e64 s[0:1], 1, v0
	s_andn2_b64 vcc, exec, s[34:35]
	s_cbranch_vccnz .LBB19_23
; %bb.10:
	s_mov_b32 s2, 0
	s_cmp_lg_u32 s33, 0
	v_mov_b32_e32 v14, 0
	v_mov_b32_e32 v0, 0
	s_cbranch_scc0 .LBB19_15
; %bb.11:
	s_waitcnt lgkmcnt(0)
	s_min_u32 s30, s56, 15
	s_add_i32 s30, s30, 1
	s_cmp_eq_u32 s56, 2
	s_cbranch_scc1 .LBB19_26
; %bb.12:
	s_add_u32 s6, s4, 0xc4
	s_addc_u32 s7, s5, 0
	s_and_b32 s2, s30, 28
	s_mov_b32 s3, 0
	v_mov_b32_e32 v0, 0
	s_mov_b64 s[28:29], s[4:5]
	v_mov_b32_e32 v2, v8
	v_mov_b32_e32 v14, 0
.LBB19_13:                              ; =>This Inner Loop Header: Depth=1
	s_load_dwordx8 s[16:23], s[28:29], 0x4
	s_load_dwordx4 s[24:27], s[28:29], 0x24
	s_load_dwordx8 s[8:15], s[6:7], 0x0
	s_add_u32 s28, s28, 48
	s_addc_u32 s29, s29, 0
	s_waitcnt lgkmcnt(0)
	v_mul_hi_u32 v1, s17, v2
	v_add_u32_e32 v1, v2, v1
	v_lshrrev_b32_e32 v1, s18, v1
	v_mul_lo_u32 v3, v1, s16
	v_mul_hi_u32 v4, s20, v1
	v_sub_u32_e32 v2, v2, v3
	v_add_u32_e32 v3, v1, v4
	v_lshrrev_b32_e32 v3, s21, v3
	v_mul_lo_u32 v5, v3, s19
	v_mul_hi_u32 v6, s23, v3
	v_sub_u32_e32 v1, v1, v5
	v_add_u32_e32 v5, v3, v6
	v_mul_lo_u32 v4, v2, s9
	v_mul_lo_u32 v2, v2, s8
	;; [unrolled: 1-line block ×4, first 2 shown]
	v_lshrrev_b32_e32 v5, s24, v5
	v_add3_u32 v0, v2, v0, v1
	v_add3_u32 v1, v4, v14, v6
	v_mul_lo_u32 v2, v5, s22
	v_mul_hi_u32 v4, s26, v5
	v_sub_u32_e32 v2, v3, v2
	v_add_u32_e32 v3, v5, v4
	v_mul_lo_u32 v4, v2, s12
	v_mul_lo_u32 v6, v2, s13
	v_lshrrev_b32_e32 v2, s27, v3
	s_add_i32 s3, s3, 4
	v_mul_lo_u32 v3, v2, s25
	s_add_u32 s6, s6, 32
	v_sub_u32_e32 v3, v5, v3
	s_addc_u32 s7, s7, 0
	v_mul_lo_u32 v5, v3, s14
	v_mul_lo_u32 v3, v3, s15
	s_cmp_lg_u32 s2, s3
	v_add3_u32 v14, v6, v1, v3
	v_add3_u32 v0, v4, v0, v5
	s_cbranch_scc1 .LBB19_13
; %bb.14:
	v_mov_b32_e32 v1, v14
	s_and_b32 s8, s30, 3
	s_cmp_eq_u32 s8, 0
	s_cbranch_scc0 .LBB19_27
.LBB19_15:
	s_cbranch_execz .LBB19_30
	s_branch .LBB19_32
.LBB19_16:
	s_or_b64 exec, exec, s[50:51]
	v_cmp_gt_i32_e32 vcc, s57, v8
	s_and_saveexec_b64 s[50:51], vcc
	s_cbranch_execz .LBB19_219
.LBB19_17:
	s_andn2_b64 vcc, exec, s[34:35]
	s_cbranch_vccnz .LBB19_25
; %bb.18:
	s_mov_b32 s6, 0
	s_andn2_b64 vcc, exec, s[48:49]
	v_mov_b32_e32 v2, 0
	v_mov_b32_e32 v0, 0
	s_cbranch_vccnz .LBB19_189
; %bb.19:
	s_add_i32 s59, s58, 1
	s_cmp_eq_u32 s56, 2
	s_cbranch_scc1 .LBB19_184
; %bb.20:
	s_and_b32 s6, s59, 28
	s_mov_b32 s7, 0
	v_mov_b32_e32 v0, 0
	s_mov_b64 s[52:53], s[4:5]
	s_mov_b64 s[54:55], s[46:47]
	v_mov_b32_e32 v3, v8
	v_mov_b32_e32 v2, 0
.LBB19_21:                              ; =>This Inner Loop Header: Depth=1
	s_load_dwordx8 s[16:23], s[52:53], 0x4
	s_load_dwordx4 s[0:3], s[52:53], 0x24
	s_load_dwordx8 s[8:15], s[54:55], 0x0
	s_add_u32 s52, s52, 48
	s_addc_u32 s53, s53, 0
	s_waitcnt lgkmcnt(0)
	v_mul_hi_u32 v1, s17, v3
	v_add_u32_e32 v1, v3, v1
	v_lshrrev_b32_e32 v1, s18, v1
	v_mul_lo_u32 v4, v1, s16
	v_mul_hi_u32 v5, s20, v1
	v_sub_u32_e32 v3, v3, v4
	v_add_u32_e32 v4, v1, v5
	v_lshrrev_b32_e32 v4, s21, v4
	v_mul_lo_u32 v6, v4, s19
	v_mul_hi_u32 v7, s23, v4
	v_sub_u32_e32 v1, v1, v6
	v_add_u32_e32 v6, v4, v7
	v_mul_lo_u32 v5, v3, s9
	v_mul_lo_u32 v3, v3, s8
	;; [unrolled: 1-line block ×4, first 2 shown]
	v_lshrrev_b32_e32 v6, s0, v6
	v_add3_u32 v0, v3, v0, v1
	v_mul_hi_u32 v3, s2, v6
	v_add_u32_e32 v3, v6, v3
	v_lshrrev_b32_e32 v3, s3, v3
	s_add_i32 s7, s7, 4
	v_add3_u32 v1, v5, v2, v7
	v_mul_lo_u32 v2, v6, s22
	v_mul_lo_u32 v5, v3, s1
	s_add_u32 s54, s54, 32
	v_sub_u32_e32 v2, v4, v2
	v_sub_u32_e32 v5, v6, v5
	s_addc_u32 s55, s55, 0
	v_mul_lo_u32 v4, v2, s12
	v_mul_lo_u32 v2, v2, s13
	;; [unrolled: 1-line block ×4, first 2 shown]
	s_cmp_eq_u32 s6, s7
	v_add3_u32 v2, v2, v1, v5
	v_add3_u32 v0, v4, v0, v6
	s_cbranch_scc0 .LBB19_21
; %bb.22:
	v_mov_b32_e32 v1, v2
	s_branch .LBB19_185
.LBB19_23:
                                        ; implicit-def: $vgpr14
                                        ; implicit-def: $vgpr0
	s_branch .LBB19_30
.LBB19_24:
                                        ; implicit-def: $vgpr2
                                        ; implicit-def: $vgpr0
	s_branch .LBB19_169
.LBB19_25:
                                        ; implicit-def: $vgpr2
                                        ; implicit-def: $vgpr0
	s_branch .LBB19_190
.LBB19_26:
	s_mov_b32 s3, s2
	v_pk_mov_b32 v[0:1], s[2:3], s[2:3] op_sel:[0,1]
                                        ; implicit-def: $vgpr14
	v_mov_b32_e32 v2, v8
	s_and_b32 s8, s30, 3
	s_cmp_eq_u32 s8, 0
	s_cbranch_scc1 .LBB19_15
.LBB19_27:
	s_lshl_b32 s3, s2, 3
	s_add_u32 s3, s3, s4
	s_addc_u32 s7, 0, s5
	s_add_u32 s6, s3, 0xc4
	s_addc_u32 s7, s7, 0
	s_mul_i32 s2, s2, 12
	s_add_u32 s2, s4, s2
	s_addc_u32 s3, 0, s5
.LBB19_28:                              ; =>This Inner Loop Header: Depth=1
	s_load_dwordx2 s[10:11], s[2:3], 0x4
	s_load_dword s9, s[2:3], 0xc
	s_load_dwordx2 s[12:13], s[6:7], 0x0
	v_mov_b32_e32 v4, v1
	s_add_u32 s2, s2, 12
	s_waitcnt lgkmcnt(0)
	v_mul_hi_u32 v1, s11, v2
	v_add_u32_e32 v1, v2, v1
	v_lshrrev_b32_e32 v1, s9, v1
	s_addc_u32 s3, s3, 0
	v_mul_lo_u32 v3, v1, s10
	s_add_u32 s6, s6, 8
	v_sub_u32_e32 v3, v2, v3
	s_addc_u32 s7, s7, 0
	s_add_i32 s8, s8, -1
	v_mov_b32_e32 v2, v1
	v_mad_u64_u32 v[4:5], s[10:11], v3, s13, v[4:5]
	v_mad_u64_u32 v[0:1], s[10:11], v3, s12, v[0:1]
	s_cmp_lg_u32 s8, 0
	v_mov_b32_e32 v1, v4
	s_cbranch_scc1 .LBB19_28
; %bb.29:
	v_mov_b32_e32 v14, v1
	s_cbranch_execnz .LBB19_32
.LBB19_30:
	s_load_dwordx4 s[8:11], s[4:5], 0x4
	s_load_dwordx2 s[2:3], s[4:5], 0xc4
	s_cmp_lt_u32 s33, 2
	s_waitcnt lgkmcnt(0)
	v_mul_hi_u32 v0, s9, v8
	v_add_u32_e32 v0, v8, v0
	v_lshrrev_b32_e32 v1, s10, v0
	v_mul_lo_u32 v0, v1, s8
	v_sub_u32_e32 v0, v8, v0
	v_mul_lo_u32 v14, v0, s3
	v_mul_lo_u32 v0, v0, s2
	s_cbranch_scc1 .LBB19_32
; %bb.31:
	s_load_dwordx4 s[8:11], s[4:5], 0x10
	s_load_dwordx2 s[2:3], s[4:5], 0xcc
	s_waitcnt lgkmcnt(0)
	v_mul_hi_u32 v2, s9, v1
	v_add_u32_e32 v2, v1, v2
	v_lshrrev_b32_e32 v2, s10, v2
	v_mul_lo_u32 v2, v2, s8
	v_sub_u32_e32 v2, v1, v2
	v_mad_u64_u32 v[0:1], s[6:7], v2, s2, v[0:1]
	v_mad_u64_u32 v[14:15], s[2:3], v2, s3, v[14:15]
.LBB19_32:
	s_and_b64 vcc, exec, s[0:1]
	v_add_u32_e32 v1, 0x80, v8
	s_cbranch_vccnz .LBB19_39
; %bb.33:
	s_mov_b32 s2, 0
	s_cmp_lg_u32 s33, 0
	v_mov_b32_e32 v12, 0
	v_mov_b32_e32 v2, 0
	s_cbranch_scc0 .LBB19_38
; %bb.34:
	s_waitcnt lgkmcnt(0)
	s_min_u32 s30, s56, 15
	s_add_i32 s30, s30, 1
	s_cmp_eq_u32 s56, 2
	s_cbranch_scc1 .LBB19_40
; %bb.35:
	s_add_u32 s6, s4, 0xc4
	s_addc_u32 s7, s5, 0
	s_and_b32 s2, s30, 28
	s_mov_b32 s3, 0
	v_mov_b32_e32 v2, 0
	s_mov_b64 s[28:29], s[4:5]
	v_mov_b32_e32 v4, v1
	v_mov_b32_e32 v12, 0
.LBB19_36:                              ; =>This Inner Loop Header: Depth=1
	s_load_dwordx8 s[16:23], s[28:29], 0x4
	s_load_dwordx4 s[24:27], s[28:29], 0x24
	s_load_dwordx8 s[8:15], s[6:7], 0x0
	s_add_u32 s28, s28, 48
	s_addc_u32 s29, s29, 0
	s_waitcnt lgkmcnt(0)
	v_mul_hi_u32 v3, s17, v4
	v_add_u32_e32 v3, v4, v3
	v_lshrrev_b32_e32 v3, s18, v3
	v_mul_lo_u32 v5, v3, s16
	v_mul_hi_u32 v6, s20, v3
	v_sub_u32_e32 v4, v4, v5
	v_add_u32_e32 v5, v3, v6
	v_lshrrev_b32_e32 v5, s21, v5
	v_mul_lo_u32 v7, v5, s19
	v_mul_hi_u32 v10, s23, v5
	v_sub_u32_e32 v3, v3, v7
	v_add_u32_e32 v7, v5, v10
	v_mul_lo_u32 v6, v4, s9
	v_mul_lo_u32 v4, v4, s8
	;; [unrolled: 1-line block ×4, first 2 shown]
	v_lshrrev_b32_e32 v7, s24, v7
	v_add3_u32 v2, v4, v2, v3
	v_add3_u32 v3, v6, v12, v10
	v_mul_lo_u32 v4, v7, s22
	v_mul_hi_u32 v6, s26, v7
	v_sub_u32_e32 v4, v5, v4
	v_add_u32_e32 v5, v7, v6
	v_mul_lo_u32 v6, v4, s12
	v_mul_lo_u32 v10, v4, s13
	v_lshrrev_b32_e32 v4, s27, v5
	s_add_i32 s3, s3, 4
	v_mul_lo_u32 v5, v4, s25
	s_add_u32 s6, s6, 32
	v_sub_u32_e32 v5, v7, v5
	s_addc_u32 s7, s7, 0
	v_mul_lo_u32 v7, v5, s14
	v_mul_lo_u32 v5, v5, s15
	s_cmp_lg_u32 s2, s3
	v_add3_u32 v12, v10, v3, v5
	v_add3_u32 v2, v6, v2, v7
	s_cbranch_scc1 .LBB19_36
; %bb.37:
	v_mov_b32_e32 v3, v12
	s_and_b32 s8, s30, 3
	s_cmp_eq_u32 s8, 0
	s_cbranch_scc0 .LBB19_41
.LBB19_38:
	s_cbranch_execz .LBB19_44
	s_branch .LBB19_46
.LBB19_39:
                                        ; implicit-def: $vgpr12
                                        ; implicit-def: $vgpr2
	s_branch .LBB19_44
.LBB19_40:
	s_mov_b32 s3, s2
	v_pk_mov_b32 v[2:3], s[2:3], s[2:3] op_sel:[0,1]
                                        ; implicit-def: $vgpr12
	v_mov_b32_e32 v4, v1
	s_and_b32 s8, s30, 3
	s_cmp_eq_u32 s8, 0
	s_cbranch_scc1 .LBB19_38
.LBB19_41:
	s_lshl_b32 s3, s2, 3
	s_add_u32 s3, s3, s4
	s_addc_u32 s7, 0, s5
	s_add_u32 s6, s3, 0xc4
	s_addc_u32 s7, s7, 0
	s_mul_i32 s2, s2, 12
	s_add_u32 s2, s4, s2
	s_addc_u32 s3, 0, s5
.LBB19_42:                              ; =>This Inner Loop Header: Depth=1
	s_load_dwordx2 s[10:11], s[2:3], 0x4
	s_load_dword s9, s[2:3], 0xc
	s_load_dwordx2 s[12:13], s[6:7], 0x0
	v_mov_b32_e32 v6, v3
	s_add_u32 s2, s2, 12
	s_waitcnt lgkmcnt(0)
	v_mul_hi_u32 v3, s11, v4
	v_add_u32_e32 v3, v4, v3
	v_lshrrev_b32_e32 v3, s9, v3
	s_addc_u32 s3, s3, 0
	v_mul_lo_u32 v5, v3, s10
	s_add_u32 s6, s6, 8
	v_sub_u32_e32 v5, v4, v5
	s_addc_u32 s7, s7, 0
	s_add_i32 s8, s8, -1
	v_mov_b32_e32 v4, v3
	v_mad_u64_u32 v[6:7], s[10:11], v5, s13, v[6:7]
	v_mad_u64_u32 v[2:3], s[10:11], v5, s12, v[2:3]
	s_cmp_lg_u32 s8, 0
	v_mov_b32_e32 v3, v6
	s_cbranch_scc1 .LBB19_42
; %bb.43:
	v_mov_b32_e32 v12, v3
	s_cbranch_execnz .LBB19_46
.LBB19_44:
	s_load_dwordx4 s[8:11], s[4:5], 0x4
	s_load_dwordx2 s[2:3], s[4:5], 0xc4
	s_cmp_lt_u32 s33, 2
	s_waitcnt lgkmcnt(0)
	v_mul_hi_u32 v2, s9, v1
	v_add_u32_e32 v2, v1, v2
	v_lshrrev_b32_e32 v3, s10, v2
	v_mul_lo_u32 v2, v3, s8
	v_sub_u32_e32 v1, v1, v2
	v_mul_lo_u32 v12, v1, s3
	v_mul_lo_u32 v2, v1, s2
	s_cbranch_scc1 .LBB19_46
; %bb.45:
	s_load_dwordx4 s[8:11], s[4:5], 0x10
	s_load_dwordx2 s[2:3], s[4:5], 0xcc
	s_waitcnt lgkmcnt(0)
	v_mul_hi_u32 v1, s9, v3
	v_add_u32_e32 v1, v3, v1
	v_lshrrev_b32_e32 v1, s10, v1
	v_mul_lo_u32 v1, v1, s8
	v_sub_u32_e32 v1, v3, v1
	v_mad_u64_u32 v[2:3], s[6:7], v1, s2, v[2:3]
	v_mad_u64_u32 v[12:13], s[2:3], v1, s3, v[12:13]
.LBB19_46:
	s_and_b64 vcc, exec, s[0:1]
	v_add_u32_e32 v1, 0x100, v8
	s_cbranch_vccnz .LBB19_53
; %bb.47:
	s_mov_b32 s2, 0
	s_cmp_lg_u32 s33, 0
	v_mov_b32_e32 v10, 0
	v_mov_b32_e32 v4, 0
	s_cbranch_scc0 .LBB19_52
; %bb.48:
	s_waitcnt lgkmcnt(0)
	s_min_u32 s30, s56, 15
	s_add_i32 s30, s30, 1
	s_cmp_eq_u32 s56, 2
	s_cbranch_scc1 .LBB19_54
; %bb.49:
	s_add_u32 s6, s4, 0xc4
	s_addc_u32 s7, s5, 0
	s_and_b32 s2, s30, 28
	s_mov_b32 s3, 0
	v_mov_b32_e32 v4, 0
	s_mov_b64 s[28:29], s[4:5]
	v_mov_b32_e32 v3, v1
	v_mov_b32_e32 v10, 0
.LBB19_50:                              ; =>This Inner Loop Header: Depth=1
	s_load_dwordx8 s[16:23], s[28:29], 0x4
	s_load_dwordx4 s[24:27], s[28:29], 0x24
	s_load_dwordx8 s[8:15], s[6:7], 0x0
	s_add_u32 s28, s28, 48
	s_addc_u32 s29, s29, 0
	s_waitcnt lgkmcnt(0)
	v_mul_hi_u32 v5, s17, v3
	v_add_u32_e32 v5, v3, v5
	v_lshrrev_b32_e32 v5, s18, v5
	v_mul_lo_u32 v6, v5, s16
	v_mul_hi_u32 v7, s20, v5
	v_sub_u32_e32 v3, v3, v6
	v_add_u32_e32 v6, v5, v7
	v_lshrrev_b32_e32 v6, s21, v6
	v_mul_lo_u32 v8, v6, s19
	v_mul_hi_u32 v11, s23, v6
	v_sub_u32_e32 v5, v5, v8
	v_add_u32_e32 v8, v6, v11
	v_mul_lo_u32 v7, v3, s9
	v_mul_lo_u32 v3, v3, s8
	;; [unrolled: 1-line block ×4, first 2 shown]
	v_lshrrev_b32_e32 v8, s24, v8
	v_add3_u32 v4, v3, v4, v5
	v_add3_u32 v5, v7, v10, v11
	v_mul_lo_u32 v3, v8, s22
	v_mul_hi_u32 v7, s26, v8
	v_sub_u32_e32 v3, v6, v3
	v_add_u32_e32 v6, v8, v7
	v_mul_lo_u32 v7, v3, s12
	v_mul_lo_u32 v10, v3, s13
	v_lshrrev_b32_e32 v3, s27, v6
	s_add_i32 s3, s3, 4
	v_mul_lo_u32 v6, v3, s25
	s_add_u32 s6, s6, 32
	v_sub_u32_e32 v6, v8, v6
	s_addc_u32 s7, s7, 0
	v_mul_lo_u32 v8, v6, s14
	v_mul_lo_u32 v6, v6, s15
	s_cmp_lg_u32 s2, s3
	v_add3_u32 v10, v10, v5, v6
	v_add3_u32 v4, v7, v4, v8
	s_cbranch_scc1 .LBB19_50
; %bb.51:
	v_mov_b32_e32 v5, v10
	s_and_b32 s8, s30, 3
	s_cmp_eq_u32 s8, 0
	s_cbranch_scc0 .LBB19_55
.LBB19_52:
	s_cbranch_execz .LBB19_58
	s_branch .LBB19_60
.LBB19_53:
                                        ; implicit-def: $vgpr10
                                        ; implicit-def: $vgpr4
	s_branch .LBB19_58
.LBB19_54:
	s_mov_b32 s3, s2
	v_pk_mov_b32 v[4:5], s[2:3], s[2:3] op_sel:[0,1]
                                        ; implicit-def: $vgpr10
	v_mov_b32_e32 v3, v1
	s_and_b32 s8, s30, 3
	s_cmp_eq_u32 s8, 0
	s_cbranch_scc1 .LBB19_52
.LBB19_55:
	s_lshl_b32 s3, s2, 3
	s_add_u32 s3, s3, s4
	s_addc_u32 s7, 0, s5
	s_add_u32 s6, s3, 0xc4
	s_addc_u32 s7, s7, 0
	s_mul_i32 s2, s2, 12
	s_add_u32 s2, s4, s2
	s_addc_u32 s3, 0, s5
.LBB19_56:                              ; =>This Inner Loop Header: Depth=1
	s_load_dwordx2 s[10:11], s[2:3], 0x4
	s_load_dword s9, s[2:3], 0xc
	s_load_dwordx2 s[12:13], s[6:7], 0x0
	v_mov_b32_e32 v6, v5
	s_add_u32 s2, s2, 12
	s_waitcnt lgkmcnt(0)
	v_mul_hi_u32 v5, s11, v3
	v_add_u32_e32 v5, v3, v5
	v_lshrrev_b32_e32 v5, s9, v5
	s_addc_u32 s3, s3, 0
	v_mul_lo_u32 v7, v5, s10
	s_add_u32 s6, s6, 8
	v_sub_u32_e32 v8, v3, v7
	s_addc_u32 s7, s7, 0
	s_add_i32 s8, s8, -1
	v_mov_b32_e32 v3, v5
	v_mad_u64_u32 v[6:7], s[10:11], v8, s13, v[6:7]
	v_mad_u64_u32 v[4:5], s[10:11], v8, s12, v[4:5]
	s_cmp_lg_u32 s8, 0
	v_mov_b32_e32 v5, v6
	s_cbranch_scc1 .LBB19_56
; %bb.57:
	v_mov_b32_e32 v10, v5
	s_cbranch_execnz .LBB19_60
.LBB19_58:
	s_load_dwordx4 s[8:11], s[4:5], 0x4
	s_load_dwordx2 s[2:3], s[4:5], 0xc4
	s_cmp_lt_u32 s33, 2
	s_waitcnt lgkmcnt(0)
	v_mul_hi_u32 v3, s9, v1
	v_add_u32_e32 v3, v1, v3
	v_lshrrev_b32_e32 v3, s10, v3
	v_mul_lo_u32 v4, v3, s8
	v_sub_u32_e32 v1, v1, v4
	v_mul_lo_u32 v10, v1, s3
	v_mul_lo_u32 v4, v1, s2
	s_cbranch_scc1 .LBB19_60
; %bb.59:
	s_load_dwordx4 s[8:11], s[4:5], 0x10
	s_load_dwordx2 s[2:3], s[4:5], 0xcc
	s_waitcnt lgkmcnt(0)
	v_mul_hi_u32 v1, s9, v3
	v_add_u32_e32 v1, v3, v1
	v_lshrrev_b32_e32 v1, s10, v1
	v_mul_lo_u32 v1, v1, s8
	v_sub_u32_e32 v1, v3, v1
	v_mad_u64_u32 v[4:5], s[6:7], v1, s2, v[4:5]
	v_mad_u64_u32 v[10:11], s[2:3], v1, s3, v[10:11]
.LBB19_60:
	s_and_b64 vcc, exec, s[0:1]
	s_cbranch_vccnz .LBB19_67
; %bb.61:
	s_mov_b32 s6, 0
	s_cmp_lg_u32 s33, 0
	v_mov_b32_e32 v8, 0
	v_mov_b32_e32 v6, 0
	s_cbranch_scc0 .LBB19_66
; %bb.62:
	s_waitcnt lgkmcnt(0)
	s_min_u32 s28, s56, 15
	s_add_i32 s28, s28, 1
	s_cmp_eq_u32 s56, 2
	s_cbranch_scc1 .LBB19_68
; %bb.63:
	s_add_u32 s24, s4, 0xc4
	s_addc_u32 s25, s5, 0
	s_and_b32 s6, s28, 28
	s_mov_b32 s7, 0
	v_mov_b32_e32 v6, 0
	s_mov_b64 s[26:27], s[4:5]
	v_mov_b32_e32 v1, v9
	v_mov_b32_e32 v8, 0
.LBB19_64:                              ; =>This Inner Loop Header: Depth=1
	s_load_dwordx8 s[16:23], s[26:27], 0x4
	s_load_dwordx4 s[0:3], s[26:27], 0x24
	s_load_dwordx8 s[8:15], s[24:25], 0x0
	s_add_u32 s26, s26, 48
	s_addc_u32 s27, s27, 0
	s_waitcnt lgkmcnt(0)
	v_mul_hi_u32 v3, s17, v1
	v_add_u32_e32 v3, v1, v3
	v_lshrrev_b32_e32 v3, s18, v3
	v_mul_lo_u32 v5, v3, s16
	v_mul_hi_u32 v7, s20, v3
	v_sub_u32_e32 v1, v1, v5
	v_add_u32_e32 v5, v3, v7
	v_lshrrev_b32_e32 v5, s21, v5
	v_mul_lo_u32 v11, v5, s19
	v_mul_hi_u32 v13, s23, v5
	v_sub_u32_e32 v3, v3, v11
	v_add_u32_e32 v11, v5, v13
	v_mul_lo_u32 v7, v1, s9
	v_mul_lo_u32 v1, v1, s8
	;; [unrolled: 1-line block ×4, first 2 shown]
	v_lshrrev_b32_e32 v11, s0, v11
	v_add3_u32 v3, v1, v6, v3
	v_add3_u32 v6, v7, v8, v13
	v_mul_lo_u32 v1, v11, s22
	v_mul_hi_u32 v7, s2, v11
	v_sub_u32_e32 v1, v5, v1
	v_add_u32_e32 v5, v11, v7
	v_mul_lo_u32 v7, v1, s12
	v_mul_lo_u32 v8, v1, s13
	v_lshrrev_b32_e32 v1, s3, v5
	s_add_i32 s7, s7, 4
	v_mul_lo_u32 v5, v1, s1
	s_add_u32 s24, s24, 32
	v_sub_u32_e32 v5, v11, v5
	s_addc_u32 s25, s25, 0
	v_mul_lo_u32 v11, v5, s14
	v_mul_lo_u32 v5, v5, s15
	s_cmp_lg_u32 s6, s7
	v_add3_u32 v8, v8, v6, v5
	v_add3_u32 v6, v7, v3, v11
	s_cbranch_scc1 .LBB19_64
; %bb.65:
	v_mov_b32_e32 v7, v8
	s_and_b32 s7, s28, 3
	s_cmp_eq_u32 s7, 0
	s_cbranch_scc0 .LBB19_69
.LBB19_66:
	s_cbranch_execz .LBB19_72
	s_branch .LBB19_74
.LBB19_67:
                                        ; implicit-def: $vgpr8
                                        ; implicit-def: $vgpr6
	s_branch .LBB19_72
.LBB19_68:
	s_mov_b32 s7, s6
	v_pk_mov_b32 v[6:7], s[6:7], s[6:7] op_sel:[0,1]
                                        ; implicit-def: $vgpr8
	v_mov_b32_e32 v1, v9
	s_and_b32 s7, s28, 3
	s_cmp_eq_u32 s7, 0
	s_cbranch_scc1 .LBB19_66
.LBB19_69:
	s_lshl_b32 s0, s6, 3
	s_add_u32 s0, s0, s4
	s_addc_u32 s1, 0, s5
	s_add_u32 s0, s0, 0xc4
	s_addc_u32 s1, s1, 0
	s_mul_i32 s2, s6, 12
	s_add_u32 s2, s4, s2
	s_addc_u32 s3, 0, s5
.LBB19_70:                              ; =>This Inner Loop Header: Depth=1
	s_load_dwordx2 s[8:9], s[2:3], 0x4
	s_load_dword s6, s[2:3], 0xc
	s_load_dwordx2 s[10:11], s[0:1], 0x0
	s_add_u32 s2, s2, 12
	s_addc_u32 s3, s3, 0
	s_waitcnt lgkmcnt(0)
	v_mul_hi_u32 v3, s9, v1
	v_add_u32_e32 v3, v1, v3
	v_lshrrev_b32_e32 v3, s6, v3
	v_mul_lo_u32 v5, v3, s8
	v_mov_b32_e32 v8, v7
	s_add_u32 s0, s0, 8
	v_sub_u32_e32 v5, v1, v5
	s_addc_u32 s1, s1, 0
	s_add_i32 s7, s7, -1
	v_mad_u64_u32 v[16:17], s[8:9], v5, s11, v[8:9]
	v_mad_u64_u32 v[6:7], s[8:9], v5, s10, v[6:7]
	s_cmp_lg_u32 s7, 0
	v_mov_b32_e32 v1, v3
	v_mov_b32_e32 v7, v16
	s_cbranch_scc1 .LBB19_70
; %bb.71:
	v_mov_b32_e32 v8, v7
	s_cbranch_execnz .LBB19_74
.LBB19_72:
	s_load_dwordx4 s[0:3], s[4:5], 0x4
	s_load_dwordx2 s[6:7], s[4:5], 0xc4
	s_cmp_lt_u32 s33, 2
	s_waitcnt lgkmcnt(0)
	v_mul_hi_u32 v1, s1, v9
	v_add_u32_e32 v1, v9, v1
	v_lshrrev_b32_e32 v1, s2, v1
	v_mul_lo_u32 v3, v1, s0
	v_sub_u32_e32 v3, v9, v3
	v_mul_lo_u32 v8, v3, s7
	v_mul_lo_u32 v6, v3, s6
	s_cbranch_scc1 .LBB19_74
; %bb.73:
	s_load_dwordx4 s[0:3], s[4:5], 0x10
	s_load_dwordx2 s[6:7], s[4:5], 0xcc
	s_waitcnt lgkmcnt(0)
	v_mul_hi_u32 v3, s1, v1
	v_add_u32_e32 v3, v1, v3
	v_lshrrev_b32_e32 v3, s2, v3
	v_mul_lo_u32 v3, v3, s0
	v_sub_u32_e32 v1, v1, v3
	v_mad_u64_u32 v[6:7], s[0:1], v1, s6, v[6:7]
	v_mad_u64_u32 v[8:9], s[0:1], v1, s7, v[8:9]
.LBB19_74:
	s_load_dwordx4 s[8:11], s[4:5], 0x148
	s_mov_b32 s20, 0x7f800000
	v_mov_b32_e32 v1, 0x7fc00000
	v_mov_b32_e32 v3, 0x7fc00000
	s_waitcnt lgkmcnt(0)
	global_load_dword v15, v14, s[10:11]
	s_waitcnt vmcnt(0)
	v_cmp_neq_f32_e64 s[0:1], |v15|, s20
	s_and_saveexec_b64 s[6:7], s[0:1]
	s_cbranch_execz .LBB19_96
; %bb.75:
	s_mov_b32 s0, 0x42cfc8b4
	v_cmp_nlt_f32_e32 vcc, s0, v15
	v_mov_b32_e32 v3, 0
	s_and_saveexec_b64 s[12:13], vcc
	s_cbranch_execz .LBB19_95
; %bb.76:
	s_mov_b32 s0, 0xc005c28f
	v_cmp_ngt_f32_e32 vcc, s0, v15
                                        ; implicit-def: $vgpr3
	s_and_saveexec_b64 s[0:1], vcc
	s_xor_b64 s[2:3], exec, s[0:1]
	s_cbranch_execz .LBB19_84
; %bb.77:
	s_mov_b32 s0, 0x4005c28f
	v_cmp_nle_f32_e64 s[4:5], s0, v15
	v_cmp_le_f32_e32 vcc, s0, v15
	v_mov_b32_e32 v3, 0
	s_mov_b64 s[0:1], s[4:5]
	s_and_saveexec_b64 s[14:15], vcc
	s_cbranch_execz .LBB19_79
; %bb.78:
	s_mov_b32 s16, 0xf800000
	v_mul_f32_e32 v3, 0x4f800000, v15
	v_cmp_gt_f32_e32 vcc, s16, v15
	v_cndmask_b32_e32 v3, v15, v3, vcc
	v_sqrt_f32_e32 v5, v3
	v_add_f32_e32 v7, v15, v15
	s_mov_b32 s17, 0x40400000
	v_add_u32_e32 v9, -1, v5
	v_fma_f32 v11, -v9, v5, v3
	v_cmp_ge_f32_e64 s[0:1], 0, v11
	v_add_u32_e32 v11, 1, v5
	v_cndmask_b32_e64 v9, v5, v9, s[0:1]
	v_fma_f32 v5, -v11, v5, v3
	v_cmp_lt_f32_e64 s[0:1], 0, v5
	v_cndmask_b32_e64 v5, v9, v11, s[0:1]
	v_mul_f32_e32 v9, 0x37800000, v5
	v_cndmask_b32_e32 v5, v5, v9, vcc
	v_mov_b32_e32 v9, 0x260
	v_cmp_class_f32_e32 vcc, v3, v9
	v_cndmask_b32_e32 v3, v5, v3, vcc
	v_mul_f32_e32 v5, v7, v3
	v_div_scale_f32 v7, s[0:1], s17, s17, v5
	v_rcp_f32_e32 v11, v7
	v_fma_f32 v13, -v7, v11, 1.0
	v_fmac_f32_e32 v11, v13, v11
	v_div_scale_f32 v13, vcc, v5, s17, v5
	v_mul_f32_e32 v14, v13, v11
	v_fma_f32 v16, -v7, v14, v13
	v_fmac_f32_e32 v14, v16, v11
	v_fma_f32 v7, -v7, v14, v13
	v_div_fmas_f32 v7, v7, v11, v14
	v_div_fixup_f32 v5, v7, s17, v5
	v_div_scale_f32 v7, s[0:1], v5, v5, 1.0
	v_rcp_f32_e32 v11, v7
	v_fma_f32 v13, -v7, v11, 1.0
	v_fmac_f32_e32 v11, v13, v11
	v_div_scale_f32 v13, vcc, 1.0, v5, 1.0
	v_mul_f32_e32 v14, v13, v11
	v_fma_f32 v16, -v7, v14, v13
	v_fmac_f32_e32 v14, v16, v11
	v_fma_f32 v7, -v7, v14, v13
	v_div_fmas_f32 v7, v7, v11, v14
	v_div_fixup_f32 v7, v7, v5, 1.0
	v_mov_b32_e32 v11, 0x3eb16d71
	v_fmac_f32_e32 v11, 0, v7
	v_mov_b32_e32 v13, 0x41401f1c
	v_fmac_f32_e32 v13, v7, v11
	;; [unrolled: 2-line block ×14, first 2 shown]
	v_fma_f32 v13, v7, v13, 1.0
	v_fma_f32 v7, v7, v11, 1.0
	v_div_scale_f32 v11, s[0:1], v13, v13, v7
	v_rcp_f32_e32 v14, v11
	v_cmp_gt_f32_e64 s[0:1], s16, v3
	v_fma_f32 v16, -v11, v14, 1.0
	v_fmac_f32_e32 v14, v16, v14
	v_div_scale_f32 v16, vcc, v7, v13, v7
	v_mul_f32_e32 v17, v16, v14
	v_fma_f32 v18, -v11, v17, v16
	v_fmac_f32_e32 v17, v18, v14
	v_fma_f32 v11, -v11, v17, v16
	v_mul_f32_e32 v16, 0x4f800000, v3
	v_cndmask_b32_e64 v3, v3, v16, s[0:1]
	v_sqrt_f32_e32 v18, v3
	v_div_fmas_f32 v11, v11, v14, v17
	v_div_fixup_f32 v16, v11, v13, v7
	v_add_u32_e32 v7, -1, v18
	v_fma_f32 v11, -v7, v18, v3
	v_cmp_ge_f32_e32 vcc, 0, v11
	v_add_u32_e32 v11, 1, v18
	v_fma_f32 v13, -v11, v18, v3
	v_cndmask_b32_e32 v7, v18, v7, vcc
	v_cmp_lt_f32_e32 vcc, 0, v13
	v_cndmask_b32_e32 v7, v7, v11, vcc
	v_mul_f32_e32 v11, 0x37800000, v7
	v_cndmask_b32_e64 v7, v7, v11, s[0:1]
	v_cmp_class_f32_e32 vcc, v3, v9
	v_cndmask_b32_e32 v17, v7, v3, vcc
	s_mov_b32 s0, 0x3fb8aa3b
	v_mul_f32_e32 v3, 0x3fb8aa3b, v5
	v_fma_f32 v7, v5, s0, -v3
	v_rndne_f32_e32 v9, v3
	v_fmac_f32_e32 v7, 0x32a5705f, v5
	v_sub_f32_e32 v3, v3, v9
	v_add_f32_e32 v3, v3, v7
	v_exp_f32_e32 v3, v3
	v_cvt_i32_f32_e32 v7, v9
	s_mov_b32 s0, 0x3f106ebb
	s_mov_b32 s1, 2.0
	v_pk_mul_f32 v[16:17], v[16:17], s[0:1]
	s_mov_b32 s0, 0xc2ce8ed0
	v_ldexp_f32 v3, v3, v7
	v_cmp_ngt_f32_e32 vcc, s0, v5
	s_mov_b32 s0, 0x42b17218
	v_cndmask_b32_e32 v3, 0, v3, vcc
	v_mov_b32_e32 v7, 0x7f800000
	v_cmp_nlt_f32_e32 vcc, s0, v5
	v_cndmask_b32_e32 v3, v7, v3, vcc
	v_mul_f32_e32 v3, v17, v3
	v_div_scale_f32 v5, s[0:1], v3, v3, v16
	v_rcp_f32_e32 v7, v5
	s_mov_b32 s0, 0x41052018
	v_fma_f32 v9, -v5, v7, 1.0
	v_fmac_f32_e32 v7, v9, v7
	v_div_scale_f32 v9, vcc, v16, v3, v16
	v_mul_f32_e32 v11, v9, v7
	v_fma_f32 v13, -v5, v11, v9
	v_fmac_f32_e32 v11, v13, v7
	v_fma_f32 v5, -v5, v11, v9
	v_div_fmas_f32 v5, v5, v7, v11
	v_cmp_nlt_f32_e32 vcc, s0, v15
	s_andn2_b64 s[0:1], s[4:5], exec
	s_and_b64 s[16:17], vcc, exec
	v_div_fixup_f32 v3, v5, v3, v16
	s_or_b64 s[0:1], s[0:1], s[16:17]
.LBB19_79:
	s_or_b64 exec, exec, s[14:15]
	s_and_saveexec_b64 s[14:15], s[0:1]
	s_cbranch_execz .LBB19_83
; %bb.80:
	v_mul_f32_e32 v5, v15, v15
	v_mul_f32_e32 v16, v15, v5
	v_mov_b32_e32 v5, 1.0
	v_mov_b32_e32 v17, v16
	s_mov_b64 s[16:17], 0
	s_brev_b32 s18, 44
	v_mov_b32_e32 v14, v5
	v_mov_b32_e32 v18, 1.0
	v_mov_b32_e32 v19, v15
.LBB19_81:                              ; =>This Inner Loop Header: Depth=1
	v_pk_mul_f32 v[18:19], v[16:17], v[18:19]
	v_add_f32_e32 v7, 1.0, v5
	v_add_f32_e32 v9, 1.0, v7
	v_div_scale_f32 v11, s[0:1], v7, v7, v18
	v_rcp_f32_e32 v20, v11
	v_div_scale_f32 v21, s[0:1], v9, v9, v19
	v_rcp_f32_e32 v23, v21
	v_fma_f32 v24, -v11, v20, 1.0
	v_div_scale_f32 v13, vcc, v18, v7, v18
	v_fmac_f32_e32 v20, v24, v20
	v_fma_f32 v24, -v21, v23, 1.0
	v_div_scale_f32 v22, s[0:1], v19, v9, v19
	v_mul_f32_e32 v25, v13, v20
	v_fmac_f32_e32 v23, v24, v23
	v_fma_f32 v24, -v11, v25, v13
	v_mul_f32_e32 v26, v22, v23
	v_fmac_f32_e32 v25, v24, v20
	v_fma_f32 v24, -v21, v26, v22
	v_fma_f32 v11, -v11, v25, v13
	v_fmac_f32_e32 v26, v24, v23
	v_div_fmas_f32 v11, v11, v20, v25
	v_fma_f32 v13, -v21, v26, v22
	s_mov_b64 vcc, s[0:1]
	v_div_fixup_f32 v7, v11, v7, v18
	v_div_fmas_f32 v11, v13, v23, v26
	v_add_f32_e32 v5, 1.0, v9
	v_div_fixup_f32 v11, v11, v9, v19
	v_div_scale_f32 v13, s[0:1], v9, v9, v7
	v_div_scale_f32 v19, s[22:23], v5, v5, v11
	v_rcp_f32_e32 v21, v13
	v_rcp_f32_e32 v22, v19
	v_div_scale_f32 v18, s[0:1], v7, v9, v7
	v_fma_f32 v23, -v13, v21, 1.0
	v_fma_f32 v24, -v19, v22, 1.0
	v_div_scale_f32 v20, vcc, v11, v5, v11
	v_fmac_f32_e32 v21, v23, v21
	v_fmac_f32_e32 v22, v24, v22
	v_mul_f32_e32 v23, v18, v21
	v_mul_f32_e32 v24, v20, v22
	v_fma_f32 v25, -v13, v23, v18
	v_fma_f32 v26, -v19, v24, v20
	v_fmac_f32_e32 v23, v25, v21
	v_fmac_f32_e32 v24, v26, v22
	v_fma_f32 v13, -v13, v23, v18
	v_fma_f32 v18, -v19, v24, v20
	v_div_fmas_f32 v18, v18, v22, v24
	s_mov_b64 vcc, s[0:1]
	v_div_fixup_f32 v19, v18, v5, v11
	v_div_fmas_f32 v11, v13, v21, v23
	v_div_fixup_f32 v18, v11, v9, v7
	v_pk_add_f32 v[14:15], v[14:15], v[18:19]
	v_div_scale_f32 v7, s[0:1], v14, v14, v18
	v_rcp_f32_e32 v9, v7
	v_div_scale_f32 v11, vcc, v18, v14, v18
	v_fma_f32 v13, -v7, v9, 1.0
	v_fmac_f32_e32 v9, v13, v9
	v_mul_f32_e32 v13, v11, v9
	v_fma_f32 v20, -v7, v13, v11
	v_fmac_f32_e32 v13, v20, v9
	v_fma_f32 v7, -v7, v13, v11
	v_div_fmas_f32 v7, v7, v9, v13
	v_div_fixup_f32 v7, v7, v14, v18
	v_cmp_ngt_f32_e64 s[0:1], |v7|, s18
	s_or_b64 s[16:17], s[0:1], s[16:17]
	s_andn2_b64 exec, exec, s[16:17]
	s_cbranch_execnz .LBB19_81
; %bb.82:
	s_or_b64 exec, exec, s[16:17]
	s_mov_b32 s0, 0x3eb5c63d
	s_mov_b32 s1, 0x3e8483fa
	v_pk_mul_f32 v[14:15], v[14:15], s[0:1]
	v_sub_f32_e32 v5, v14, v15
	v_cndmask_b32_e64 v3, v3, v5, s[4:5]
.LBB19_83:
	s_or_b64 exec, exec, s[14:15]
                                        ; implicit-def: $vgpr15
.LBB19_84:
	s_andn2_saveexec_b64 s[14:15], s[2:3]
	s_cbranch_execz .LBB19_94
; %bb.85:
	s_mov_b32 s0, 0x8f800000
	v_mul_f32_e32 v3, 0xcf800000, v15
	v_cmp_lt_f32_e32 vcc, s0, v15
	v_cndmask_b32_e64 v3, -v15, v3, vcc
	v_sqrt_f32_e32 v5, v3
	v_mul_f32_e32 v7, -2.0, v15
	s_mov_b32 s2, 0x40400000
	v_add_u32_e32 v9, -1, v5
	v_fma_f32 v11, -v9, v5, v3
	v_cmp_ge_f32_e64 s[0:1], 0, v11
	v_add_u32_e32 v11, 1, v5
	v_cndmask_b32_e64 v9, v5, v9, s[0:1]
	v_fma_f32 v5, -v11, v5, v3
	v_cmp_lt_f32_e64 s[0:1], 0, v5
	v_cndmask_b32_e64 v5, v9, v11, s[0:1]
	v_mul_f32_e32 v9, 0x37800000, v5
	v_cndmask_b32_e32 v5, v5, v9, vcc
	v_mov_b32_e32 v9, 0x260
	v_cmp_class_f32_e32 vcc, v3, v9
	v_cndmask_b32_e32 v3, v5, v3, vcc
	v_mul_f32_e32 v5, v7, v3
	v_div_scale_f32 v7, s[0:1], s2, s2, v5
	v_rcp_f32_e32 v9, v7
	s_brev_b32 s0, 18
	v_fma_f32 v11, -v7, v9, 1.0
	v_fmac_f32_e32 v9, v11, v9
	v_div_scale_f32 v11, vcc, v5, s2, v5
	v_mul_f32_e32 v13, v11, v9
	v_fma_f32 v14, -v7, v13, v11
	v_fmac_f32_e32 v13, v14, v9
	v_fma_f32 v7, -v7, v13, v11
	v_div_fmas_f32 v7, v7, v9, v13
	v_div_fixup_f32 v9, v7, s2, v5
	v_add_f32_e32 v5, 0x3f490fdb, v9
	v_and_b32_e32 v7, 0x7fffffff, v5
	v_cmp_nlt_f32_e64 s[16:17], |v5|, s0
                                        ; implicit-def: $vgpr11
                                        ; implicit-def: $vgpr13
	s_and_saveexec_b64 s[0:1], s[16:17]
	s_xor_b64 s[18:19], exec, s[0:1]
	s_cbranch_execz .LBB19_87
; %bb.86:
	v_lshrrev_b32_e32 v11, 23, v7
	v_add_u32_e32 v11, 0xffffff88, v11
	v_not_b32_e32 v13, 63
	v_cmp_lt_u32_e32 vcc, 63, v11
	v_cndmask_b32_e32 v13, 0, v13, vcc
	v_add_u32_e32 v11, v13, v11
	v_not_b32_e32 v13, 31
	v_cmp_lt_u32_e64 s[0:1], 31, v11
	v_cndmask_b32_e64 v14, 0, v13, s[0:1]
	v_add_u32_e32 v11, v14, v11
	v_cmp_lt_u32_e64 s[2:3], 31, v11
	v_cndmask_b32_e64 v13, 0, v13, s[2:3]
	v_add_u32_e32 v11, v13, v11
	v_and_b32_e32 v13, 0x7fffff, v7
	v_or_b32_e32 v13, 0x800000, v13
	s_mov_b32 s4, 0xfe5163ab
	v_mad_u64_u32 v[16:17], s[4:5], v13, s4, 0
	v_mov_b32_e32 v15, 0
	v_mov_b32_e32 v14, v17
	s_mov_b32 s4, 0x3c439041
	v_mad_u64_u32 v[18:19], s[4:5], v13, s4, v[14:15]
	v_mov_b32_e32 v14, v19
	s_mov_b32 s4, 0xdb629599
	v_mad_u64_u32 v[20:21], s[4:5], v13, s4, v[14:15]
	;; [unrolled: 3-line block ×6, first 2 shown]
	v_cndmask_b32_e32 v17, v26, v22, vcc
	v_cndmask_b32_e32 v13, v14, v24, vcc
	;; [unrolled: 1-line block ×3, first 2 shown]
	v_cndmask_b32_e64 v14, v13, v17, s[0:1]
	v_cndmask_b32_e64 v13, v15, v13, s[0:1]
	v_cndmask_b32_e32 v15, v24, v20, vcc
	v_cndmask_b32_e64 v17, v17, v15, s[0:1]
	v_cndmask_b32_e64 v13, v13, v14, s[2:3]
	;; [unrolled: 1-line block ×3, first 2 shown]
	v_sub_u32_e32 v19, 32, v11
	v_alignbit_b32 v21, v13, v14, v19
	v_cmp_eq_u32_e64 s[4:5], 0, v11
	v_cndmask_b32_e64 v11, v21, v13, s[4:5]
	v_cndmask_b32_e32 v13, v22, v18, vcc
	v_cndmask_b32_e64 v15, v15, v13, s[0:1]
	v_cndmask_b32_e64 v17, v17, v15, s[2:3]
	v_alignbit_b32 v18, v14, v17, v19
	v_cndmask_b32_e64 v14, v18, v14, s[4:5]
	v_bfe_u32 v22, v11, 29, 1
	v_cndmask_b32_e32 v16, v20, v16, vcc
	v_alignbit_b32 v18, v11, v14, 30
	v_sub_u32_e32 v23, 0, v22
	v_cndmask_b32_e64 v13, v13, v16, s[0:1]
	v_xor_b32_e32 v24, v18, v23
	v_cndmask_b32_e64 v13, v15, v13, s[2:3]
	v_alignbit_b32 v15, v17, v13, v19
	v_ffbh_u32_e32 v16, v24
	v_cndmask_b32_e64 v15, v15, v17, s[4:5]
	v_add_u32_e32 v16, 1, v16
	v_cmp_ne_u32_e32 vcc, v18, v23
	v_alignbit_b32 v14, v14, v15, 30
	v_cndmask_b32_e32 v16, 33, v16, vcc
	v_alignbit_b32 v13, v15, v13, 30
	v_xor_b32_e32 v14, v14, v23
	v_sub_u32_e32 v17, 32, v16
	v_xor_b32_e32 v13, v13, v23
	v_alignbit_b32 v18, v24, v14, v17
	v_alignbit_b32 v13, v14, v13, v17
	;; [unrolled: 1-line block ×3, first 2 shown]
	v_ffbh_u32_e32 v15, v14
	v_min_u32_e32 v15, 32, v15
	v_lshrrev_b32_e32 v21, 29, v11
	v_sub_u32_e32 v17, 31, v15
	v_alignbit_b32 v13, v14, v13, v17
	v_lshlrev_b32_e32 v14, 31, v21
	v_or_b32_e32 v17, 0x33800000, v14
	v_add_lshl_u32 v15, v15, v16, 23
	v_lshrrev_b32_e32 v13, 9, v13
	v_sub_u32_e32 v15, v17, v15
	v_or_b32_e32 v13, v15, v13
	v_alignbit_b32 v15, v16, v18, 9
	v_or_b32_e32 v14, v15, v14
	v_xor_b32_e32 v14, 1.0, v14
	s_mov_b32 s0, 0x3fc90fda
	v_mul_f32_e32 v15, 0x3fc90fda, v14
	v_fma_f32 v16, v14, s0, -v15
	v_fmac_f32_e32 v16, 0x33a22168, v14
	v_fmac_f32_e32 v16, 0x3fc90fda, v13
	v_lshrrev_b32_e32 v11, 30, v11
	v_add_f32_e32 v13, v15, v16
	v_add_u32_e32 v11, v22, v11
	s_andn2_saveexec_b64 s[0:1], s[18:19]
	s_branch .LBB19_88
.LBB19_87:
	s_andn2_saveexec_b64 s[0:1], s[18:19]
.LBB19_88:
	s_mov_b32 s2, 0x3f22f983
	v_mul_f32_e64 v11, |v5|, s2
	v_rndne_f32_e32 v14, v11
	s_mov_b32 s2, 0xbfc90fda
	v_cvt_i32_f32_e32 v11, v14
	v_fma_f32 v13, v14, s2, |v5|
	v_fmac_f32_e32 v13, 0xb3a22168, v14
	v_fmac_f32_e32 v13, 0xa7c234c4, v14
; %bb.89:
	s_or_b64 exec, exec, s[0:1]
                                        ; implicit-def: $vgpr14
                                        ; implicit-def: $vgpr15
	s_and_saveexec_b64 s[0:1], s[16:17]
	s_xor_b64 s[16:17], exec, s[0:1]
	s_cbranch_execz .LBB19_91
; %bb.90:
	v_lshrrev_b32_e32 v14, 23, v7
	v_add_u32_e32 v14, 0xffffff88, v14
	v_not_b32_e32 v16, 63
	v_cmp_lt_u32_e32 vcc, 63, v14
	v_cndmask_b32_e32 v16, 0, v16, vcc
	v_add_u32_e32 v14, v16, v14
	v_not_b32_e32 v16, 31
	v_cmp_lt_u32_e64 s[0:1], 31, v14
	v_cndmask_b32_e64 v17, 0, v16, s[0:1]
	v_add_u32_e32 v14, v17, v14
	v_cmp_lt_u32_e64 s[2:3], 31, v14
	v_cndmask_b32_e64 v16, 0, v16, s[2:3]
	v_add_u32_e32 v28, v16, v14
	v_and_b32_e32 v14, 0x7fffff, v7
	v_or_b32_e32 v29, 0x800000, v14
	s_mov_b32 s4, 0xfe5163ab
	v_mad_u64_u32 v[16:17], s[4:5], v29, s4, 0
	v_mov_b32_e32 v15, 0
	v_mov_b32_e32 v14, v17
	s_mov_b32 s4, 0x3c439041
	v_mad_u64_u32 v[18:19], s[4:5], v29, s4, v[14:15]
	v_mov_b32_e32 v14, v19
	s_mov_b32 s4, 0xdb629599
	v_mad_u64_u32 v[20:21], s[4:5], v29, s4, v[14:15]
	;; [unrolled: 3-line block ×6, first 2 shown]
	v_cndmask_b32_e32 v17, v26, v22, vcc
	v_cndmask_b32_e32 v14, v14, v24, vcc
	;; [unrolled: 1-line block ×3, first 2 shown]
	v_cndmask_b32_e64 v19, v14, v17, s[0:1]
	v_cndmask_b32_e64 v14, v15, v14, s[0:1]
	v_cndmask_b32_e32 v15, v24, v20, vcc
	v_cndmask_b32_e64 v17, v17, v15, s[0:1]
	v_cndmask_b32_e32 v18, v22, v18, vcc
	v_cndmask_b32_e64 v14, v14, v19, s[2:3]
	v_cndmask_b32_e64 v19, v19, v17, s[2:3]
	v_sub_u32_e32 v21, 32, v28
	v_cndmask_b32_e64 v15, v15, v18, s[0:1]
	v_alignbit_b32 v23, v14, v19, v21
	v_cmp_eq_u32_e64 s[4:5], 0, v28
	v_cndmask_b32_e64 v17, v17, v15, s[2:3]
	v_cndmask_b32_e64 v14, v23, v14, s[4:5]
	v_alignbit_b32 v22, v19, v17, v21
	v_cndmask_b32_e64 v19, v22, v19, s[4:5]
	v_bfe_u32 v24, v14, 29, 1
	v_cndmask_b32_e32 v16, v20, v16, vcc
	v_alignbit_b32 v22, v14, v19, 30
	v_sub_u32_e32 v25, 0, v24
	v_cndmask_b32_e64 v16, v18, v16, s[0:1]
	v_xor_b32_e32 v26, v22, v25
	v_cndmask_b32_e64 v15, v15, v16, s[2:3]
	v_alignbit_b32 v16, v17, v15, v21
	v_ffbh_u32_e32 v18, v26
	v_cndmask_b32_e64 v16, v16, v17, s[4:5]
	v_add_u32_e32 v18, 1, v18
	v_cmp_ne_u32_e32 vcc, v22, v25
	v_alignbit_b32 v17, v19, v16, 30
	v_cndmask_b32_e32 v18, 33, v18, vcc
	v_alignbit_b32 v15, v16, v15, 30
	v_xor_b32_e32 v17, v17, v25
	v_sub_u32_e32 v19, 32, v18
	v_xor_b32_e32 v15, v15, v25
	v_alignbit_b32 v20, v26, v17, v19
	v_alignbit_b32 v15, v17, v15, v19
	;; [unrolled: 1-line block ×3, first 2 shown]
	v_ffbh_u32_e32 v17, v16
	v_min_u32_e32 v17, 32, v17
	v_lshrrev_b32_e32 v23, 29, v14
	v_sub_u32_e32 v19, 31, v17
	v_alignbit_b32 v15, v16, v15, v19
	v_lshlrev_b32_e32 v16, 31, v23
	v_or_b32_e32 v19, 0x33800000, v16
	v_add_lshl_u32 v17, v17, v18, 23
	v_lshrrev_b32_e32 v15, 9, v15
	v_sub_u32_e32 v17, v19, v17
	v_or_b32_e32 v15, v17, v15
	v_alignbit_b32 v17, v18, v20, 9
	v_or_b32_e32 v16, v17, v16
	v_xor_b32_e32 v16, 1.0, v16
	s_mov_b32 s0, 0x3fc90fda
	v_mul_f32_e32 v17, 0x3fc90fda, v16
	v_fma_f32 v18, v16, s0, -v17
	v_fmac_f32_e32 v18, 0x33a22168, v16
	v_fmac_f32_e32 v18, 0x3fc90fda, v15
	v_lshrrev_b32_e32 v14, 30, v14
	v_add_f32_e32 v15, v17, v18
	v_add_u32_e32 v14, v24, v14
	s_andn2_saveexec_b64 s[0:1], s[16:17]
	s_cbranch_execnz .LBB19_92
	s_branch .LBB19_93
.LBB19_91:
	s_andn2_saveexec_b64 s[0:1], s[16:17]
.LBB19_92:
	s_mov_b32 s2, 0x3f22f983
	v_mul_f32_e64 v14, |v5|, s2
	v_rndne_f32_e32 v16, v14
	s_mov_b32 s2, 0xbfc90fda
	v_cvt_i32_f32_e32 v14, v16
	v_fma_f32 v15, v16, s2, |v5|
	v_fmac_f32_e32 v15, 0xb3a22168, v16
	v_fmac_f32_e32 v15, 0xa7c234c4, v16
.LBB19_93:
	s_or_b64 exec, exec, s[0:1]
	v_div_scale_f32 v16, s[0:1], v9, v9, 1.0
	v_rcp_f32_e32 v17, v16
	v_div_scale_f32 v18, vcc, 1.0, v9, 1.0
	v_mov_b32_e32 v23, 0xbab64f3b
	v_fma_f32 v19, -v16, v17, 1.0
	v_fmac_f32_e32 v17, v19, v17
	v_mul_f32_e32 v19, v18, v17
	v_fma_f32 v20, -v16, v19, v18
	v_fmac_f32_e32 v19, v20, v17
	v_fma_f32 v16, -v16, v19, v18
	v_div_fmas_f32 v16, v16, v17, v19
	v_div_fixup_f32 v9, v16, v9, 1.0
	v_mul_f32_e32 v16, v9, v9
	v_mov_b32_e32 v17, 0xbe06db67
	v_fmac_f32_e32 v17, 0, v16
	v_mov_b32_e32 v18, 0xbf205f75
	v_fmac_f32_e32 v18, v16, v17
	;; [unrolled: 2-line block ×18, first 2 shown]
	v_mul_f32_e32 v18, v13, v13
	v_mov_b32_e32 v21, 0x3c0881c4
	v_fmac_f32_e32 v23, 0x37d75334, v18
	v_mov_b32_e32 v24, 0x3d2aabf7
	v_fmac_f32_e32 v21, 0xb94c1982, v18
	v_mov_b32_e32 v22, 0xbe2aaa9d
	v_fma_f32 v23, v18, v23, v24
	v_mov_b32_e32 v25, 0xbf000004
	v_fma_f32 v21, v18, v21, v22
	v_fma_f32 v23, v18, v23, v25
	v_mul_f32_e32 v21, v18, v21
	v_fma_f32 v18, v18, v23, 1.0
	v_and_b32_e32 v23, 1, v11
	v_lshlrev_b32_e32 v11, 30, v11
	v_fmac_f32_e32 v13, v13, v21
	v_cmp_eq_u32_e32 vcc, 0, v23
	v_and_b32_e32 v11, 0x80000000, v11
	v_xor_b32_e32 v7, v7, v5
	v_cndmask_b32_e32 v13, v18, v13, vcc
	v_xor_b32_e32 v7, v7, v11
	v_mul_f32_e32 v11, v16, v19
	v_xor_b32_e32 v7, v7, v13
	v_div_scale_f32 v13, s[0:1], v17, v17, v11
	v_rcp_f32_e32 v18, v13
	s_movk_i32 s2, 0x1f8
	v_mov_b32_e32 v19, 0x7fc00000
	v_cmp_class_f32_e64 s[0:1], v5, s2
	v_cndmask_b32_e64 v5, v19, v7, s[0:1]
	v_fma_f32 v7, -v13, v18, 1.0
	v_fmac_f32_e32 v18, v7, v18
	v_div_scale_f32 v7, vcc, v11, v17, v11
	v_mul_f32_e32 v23, v7, v18
	v_fma_f32 v26, -v13, v23, v7
	v_fmac_f32_e32 v23, v26, v18
	v_fma_f32 v7, -v13, v23, v7
	v_div_fmas_f32 v7, v7, v18, v23
	v_div_fixup_f32 v7, v7, v17, v11
	v_mov_b32_e32 v11, 0x3ca1a92f
	v_fmac_f32_e32 v11, 0, v16
	v_mov_b32_e32 v13, 0x3ec83ea8
	v_fmac_f32_e32 v13, v16, v11
	;; [unrolled: 2-line block ×17, first 2 shown]
	v_mov_b32_e32 v13, 0x3b873823
	s_mov_b32 s2, 0xf800000
	v_fmac_f32_e32 v13, v16, v17
	v_mul_f32_e32 v17, 0x4f800000, v3
	v_cmp_gt_f32_e32 vcc, s2, v3
	v_cndmask_b32_e32 v3, v3, v17, vcc
	v_sqrt_f32_e32 v17, v3
	s_mov_b32 s4, 0x3f106ebb
	v_mov_b32_e32 v18, 0x38d45b0f
	v_fmac_f32_e32 v18, v16, v13
	v_add_u32_e32 v23, -1, v17
	v_fma_f32 v26, -v23, v17, v3
	v_cmp_ge_f32_e64 s[2:3], 0, v26
	v_add_u32_e32 v26, 1, v17
	v_cndmask_b32_e64 v23, v17, v23, s[2:3]
	v_fma_f32 v17, -v26, v17, v3
	v_cmp_lt_f32_e64 s[2:3], 0, v17
	v_cndmask_b32_e64 v17, v23, v26, s[2:3]
	v_mul_f32_e32 v23, 0x37800000, v17
	v_cndmask_b32_e32 v17, v17, v23, vcc
	v_mov_b32_e32 v23, 0x260
	v_cmp_class_f32_e32 vcc, v3, v23
	v_cndmask_b32_e32 v3, v17, v3, vcc
	v_div_scale_f32 v17, s[2:3], v3, v3, s4
	v_rcp_f32_e32 v23, v17
	v_mov_b32_e32 v13, 0x359d422f
	v_fmac_f32_e32 v13, v16, v18
	v_mov_b32_e32 v18, 0x31a8fe3a
	v_fmac_f32_e32 v18, v16, v13
	v_fma_f32 v13, -v17, v23, 1.0
	v_fmac_f32_e32 v23, v13, v23
	v_div_scale_f32 v13, vcc, s4, v3, s4
	v_mul_f32_e32 v16, v13, v23
	v_fma_f32 v26, -v17, v16, v13
	v_fmac_f32_e32 v16, v26, v23
	v_fma_f32 v13, -v17, v16, v13
	v_div_fmas_f32 v13, v13, v23, v16
	v_mov_b32_e32 v20, 0x3c0881c4
	v_div_fixup_f32 v3, v13, v3, s4
	v_mul_f32_e32 v13, v15, v15
	v_mov_b32_e32 v21, 0xbab64f3b
	v_fmac_f32_e32 v20, 0xb94c1982, v13
	v_fmac_f32_e32 v22, v13, v20
	;; [unrolled: 1-line block ×3, first 2 shown]
	v_mul_f32_e32 v16, v13, v22
	v_fmac_f32_e32 v24, v13, v21
	v_fmac_f32_e32 v15, v15, v16
	;; [unrolled: 1-line block ×3, first 2 shown]
	v_and_b32_e32 v16, 1, v14
	v_mul_f32_e32 v9, v9, v11
	v_fma_f32 v13, v13, v25, 1.0
	v_cmp_eq_u32_e32 vcc, 0, v16
	v_div_scale_f32 v11, s[2:3], v18, v18, v9
	v_cndmask_b32_e64 v13, -v15, v13, vcc
	v_rcp_f32_e32 v15, v11
	v_lshlrev_b32_e32 v14, 30, v14
	v_and_b32_e32 v14, 0x80000000, v14
	v_xor_b32_e32 v13, v14, v13
	v_fma_f32 v14, -v11, v15, 1.0
	v_fmac_f32_e32 v15, v14, v15
	v_div_scale_f32 v14, vcc, v9, v18, v9
	v_mul_f32_e32 v16, v14, v15
	v_fma_f32 v17, -v11, v16, v14
	v_fmac_f32_e32 v16, v17, v15
	v_fma_f32 v11, -v11, v16, v14
	v_div_fmas_f32 v11, v11, v15, v16
	v_cndmask_b32_e64 v13, v19, v13, s[0:1]
	v_div_fixup_f32 v9, v11, v18, v9
	v_add_f32_e32 v7, 1.0, v7
	v_mul_f32_e32 v9, v9, v13
	v_fma_f32 v5, v7, v5, -v9
	v_mul_f32_e32 v3, v3, v5
.LBB19_94:
	s_or_b64 exec, exec, s[14:15]
.LBB19_95:
	s_or_b64 exec, exec, s[12:13]
.LBB19_96:
	s_or_b64 exec, exec, s[6:7]
	global_load_dword v13, v12, s[10:11]
	s_waitcnt vmcnt(0)
	v_cmp_neq_f32_e64 s[0:1], |v13|, s20
	s_and_saveexec_b64 s[6:7], s[0:1]
	s_cbranch_execz .LBB19_118
; %bb.97:
	s_mov_b32 s0, 0x42cfc8b4
	v_cmp_nlt_f32_e32 vcc, s0, v13
	v_mov_b32_e32 v1, 0
	s_and_saveexec_b64 s[12:13], vcc
	s_cbranch_execz .LBB19_117
; %bb.98:
	s_mov_b32 s0, 0xc005c28f
	v_cmp_ngt_f32_e32 vcc, s0, v13
                                        ; implicit-def: $vgpr1
	s_and_saveexec_b64 s[0:1], vcc
	s_xor_b64 s[2:3], exec, s[0:1]
	s_cbranch_execz .LBB19_106
; %bb.99:
	s_mov_b32 s0, 0x4005c28f
	v_cmp_nle_f32_e64 s[4:5], s0, v13
	v_cmp_le_f32_e32 vcc, s0, v13
	v_mov_b32_e32 v1, 0
	s_mov_b64 s[0:1], s[4:5]
	s_and_saveexec_b64 s[14:15], vcc
	s_cbranch_execz .LBB19_101
; %bb.100:
	s_mov_b32 s16, 0xf800000
	v_mul_f32_e32 v1, 0x4f800000, v13
	v_cmp_gt_f32_e32 vcc, s16, v13
	v_cndmask_b32_e32 v1, v13, v1, vcc
	v_sqrt_f32_e32 v5, v1
	v_add_f32_e32 v7, v13, v13
	s_mov_b32 s17, 0x40400000
	v_add_u32_e32 v9, -1, v5
	v_fma_f32 v11, -v9, v5, v1
	v_cmp_ge_f32_e64 s[0:1], 0, v11
	v_add_u32_e32 v11, 1, v5
	v_cndmask_b32_e64 v9, v5, v9, s[0:1]
	v_fma_f32 v5, -v11, v5, v1
	v_cmp_lt_f32_e64 s[0:1], 0, v5
	v_cndmask_b32_e64 v5, v9, v11, s[0:1]
	v_mul_f32_e32 v9, 0x37800000, v5
	v_cndmask_b32_e32 v5, v5, v9, vcc
	v_mov_b32_e32 v9, 0x260
	v_cmp_class_f32_e32 vcc, v1, v9
	v_cndmask_b32_e32 v1, v5, v1, vcc
	v_mul_f32_e32 v5, v7, v1
	v_div_scale_f32 v7, s[0:1], s17, s17, v5
	v_rcp_f32_e32 v11, v7
	v_fma_f32 v12, -v7, v11, 1.0
	v_fmac_f32_e32 v11, v12, v11
	v_div_scale_f32 v12, vcc, v5, s17, v5
	v_mul_f32_e32 v14, v12, v11
	v_fma_f32 v15, -v7, v14, v12
	v_fmac_f32_e32 v14, v15, v11
	v_fma_f32 v7, -v7, v14, v12
	v_div_fmas_f32 v7, v7, v11, v14
	v_div_fixup_f32 v5, v7, s17, v5
	v_div_scale_f32 v7, s[0:1], v5, v5, 1.0
	v_rcp_f32_e32 v11, v7
	v_fma_f32 v12, -v7, v11, 1.0
	v_fmac_f32_e32 v11, v12, v11
	v_div_scale_f32 v12, vcc, 1.0, v5, 1.0
	v_mul_f32_e32 v14, v12, v11
	v_fma_f32 v15, -v7, v14, v12
	v_fmac_f32_e32 v14, v15, v11
	v_fma_f32 v7, -v7, v14, v12
	v_div_fmas_f32 v7, v7, v11, v14
	v_div_fixup_f32 v7, v7, v5, 1.0
	v_mov_b32_e32 v11, 0x3eb16d71
	v_fmac_f32_e32 v11, 0, v7
	v_mov_b32_e32 v12, 0x41401f1c
	v_fmac_f32_e32 v12, v7, v11
	;; [unrolled: 2-line block ×14, first 2 shown]
	v_fma_f32 v12, v7, v12, 1.0
	v_fma_f32 v7, v7, v11, 1.0
	v_div_scale_f32 v11, s[0:1], v12, v12, v7
	v_rcp_f32_e32 v14, v11
	v_cmp_gt_f32_e64 s[0:1], s16, v1
	v_fma_f32 v15, -v11, v14, 1.0
	v_fmac_f32_e32 v14, v15, v14
	v_div_scale_f32 v15, vcc, v7, v12, v7
	v_mul_f32_e32 v16, v15, v14
	v_fma_f32 v17, -v11, v16, v15
	v_fmac_f32_e32 v16, v17, v14
	v_fma_f32 v11, -v11, v16, v15
	v_mul_f32_e32 v15, 0x4f800000, v1
	v_cndmask_b32_e64 v1, v1, v15, s[0:1]
	v_sqrt_f32_e32 v15, v1
	v_div_fmas_f32 v11, v11, v14, v16
	v_div_fixup_f32 v14, v11, v12, v7
	v_add_u32_e32 v7, -1, v15
	v_fma_f32 v11, -v7, v15, v1
	v_cmp_ge_f32_e32 vcc, 0, v11
	v_add_u32_e32 v11, 1, v15
	v_fma_f32 v12, -v11, v15, v1
	v_cndmask_b32_e32 v7, v15, v7, vcc
	v_cmp_lt_f32_e32 vcc, 0, v12
	v_cndmask_b32_e32 v7, v7, v11, vcc
	v_mul_f32_e32 v11, 0x37800000, v7
	v_cndmask_b32_e64 v7, v7, v11, s[0:1]
	v_cmp_class_f32_e32 vcc, v1, v9
	v_cndmask_b32_e32 v15, v7, v1, vcc
	s_mov_b32 s0, 0x3fb8aa3b
	v_mul_f32_e32 v1, 0x3fb8aa3b, v5
	v_fma_f32 v7, v5, s0, -v1
	v_rndne_f32_e32 v9, v1
	v_fmac_f32_e32 v7, 0x32a5705f, v5
	v_sub_f32_e32 v1, v1, v9
	v_add_f32_e32 v1, v1, v7
	v_exp_f32_e32 v1, v1
	v_cvt_i32_f32_e32 v7, v9
	s_mov_b32 s0, 0x3f106ebb
	s_mov_b32 s1, 2.0
	v_pk_mul_f32 v[14:15], v[14:15], s[0:1]
	s_mov_b32 s0, 0xc2ce8ed0
	v_ldexp_f32 v1, v1, v7
	v_cmp_ngt_f32_e32 vcc, s0, v5
	s_mov_b32 s0, 0x42b17218
	v_cndmask_b32_e32 v1, 0, v1, vcc
	v_mov_b32_e32 v7, 0x7f800000
	v_cmp_nlt_f32_e32 vcc, s0, v5
	v_cndmask_b32_e32 v1, v7, v1, vcc
	v_mul_f32_e32 v1, v15, v1
	v_div_scale_f32 v5, s[0:1], v1, v1, v14
	v_rcp_f32_e32 v7, v5
	s_mov_b32 s0, 0x41052018
	v_fma_f32 v9, -v5, v7, 1.0
	v_fmac_f32_e32 v7, v9, v7
	v_div_scale_f32 v9, vcc, v14, v1, v14
	v_mul_f32_e32 v11, v9, v7
	v_fma_f32 v12, -v5, v11, v9
	v_fmac_f32_e32 v11, v12, v7
	v_fma_f32 v5, -v5, v11, v9
	v_div_fmas_f32 v5, v5, v7, v11
	v_cmp_nlt_f32_e32 vcc, s0, v13
	s_andn2_b64 s[0:1], s[4:5], exec
	s_and_b64 s[16:17], vcc, exec
	v_div_fixup_f32 v1, v5, v1, v14
	s_or_b64 s[0:1], s[0:1], s[16:17]
.LBB19_101:
	s_or_b64 exec, exec, s[14:15]
	s_and_saveexec_b64 s[14:15], s[0:1]
	s_cbranch_execz .LBB19_105
; %bb.102:
	v_mul_f32_e32 v5, v13, v13
	v_mul_f32_e32 v14, v13, v5
	v_mov_b32_e32 v5, 1.0
	v_mov_b32_e32 v15, v14
	s_mov_b64 s[16:17], 0
	s_brev_b32 s18, 44
	v_mov_b32_e32 v12, v5
	v_mov_b32_e32 v16, 1.0
	v_mov_b32_e32 v17, v13
.LBB19_103:                             ; =>This Inner Loop Header: Depth=1
	v_pk_mul_f32 v[16:17], v[14:15], v[16:17]
	v_add_f32_e32 v7, 1.0, v5
	v_add_f32_e32 v9, 1.0, v7
	v_div_scale_f32 v11, s[0:1], v7, v7, v16
	v_rcp_f32_e32 v19, v11
	v_div_scale_f32 v20, s[0:1], v9, v9, v17
	v_rcp_f32_e32 v22, v20
	v_fma_f32 v23, -v11, v19, 1.0
	v_div_scale_f32 v18, vcc, v16, v7, v16
	v_fmac_f32_e32 v19, v23, v19
	v_fma_f32 v23, -v20, v22, 1.0
	v_div_scale_f32 v21, s[0:1], v17, v9, v17
	v_mul_f32_e32 v24, v18, v19
	v_fmac_f32_e32 v22, v23, v22
	v_fma_f32 v23, -v11, v24, v18
	v_mul_f32_e32 v25, v21, v22
	v_fmac_f32_e32 v24, v23, v19
	v_fma_f32 v23, -v20, v25, v21
	v_fma_f32 v11, -v11, v24, v18
	v_fmac_f32_e32 v25, v23, v22
	v_div_fmas_f32 v11, v11, v19, v24
	v_fma_f32 v18, -v20, v25, v21
	s_mov_b64 vcc, s[0:1]
	v_div_fixup_f32 v7, v11, v7, v16
	v_div_fmas_f32 v11, v18, v22, v25
	v_add_f32_e32 v5, 1.0, v9
	v_div_fixup_f32 v11, v11, v9, v17
	v_div_scale_f32 v16, s[0:1], v9, v9, v7
	v_div_scale_f32 v18, s[20:21], v5, v5, v11
	v_rcp_f32_e32 v20, v16
	v_rcp_f32_e32 v21, v18
	v_div_scale_f32 v17, s[0:1], v7, v9, v7
	v_fma_f32 v22, -v16, v20, 1.0
	v_fma_f32 v23, -v18, v21, 1.0
	v_div_scale_f32 v19, vcc, v11, v5, v11
	v_fmac_f32_e32 v20, v22, v20
	v_fmac_f32_e32 v21, v23, v21
	v_mul_f32_e32 v22, v17, v20
	v_mul_f32_e32 v23, v19, v21
	v_fma_f32 v24, -v16, v22, v17
	v_fma_f32 v25, -v18, v23, v19
	v_fmac_f32_e32 v22, v24, v20
	v_fmac_f32_e32 v23, v25, v21
	v_fma_f32 v16, -v16, v22, v17
	v_fma_f32 v17, -v18, v23, v19
	v_div_fmas_f32 v17, v17, v21, v23
	s_mov_b64 vcc, s[0:1]
	v_div_fixup_f32 v17, v17, v5, v11
	v_div_fmas_f32 v11, v16, v20, v22
	v_div_fixup_f32 v16, v11, v9, v7
	v_pk_add_f32 v[12:13], v[12:13], v[16:17]
	v_div_scale_f32 v7, s[0:1], v12, v12, v16
	v_rcp_f32_e32 v9, v7
	v_div_scale_f32 v11, vcc, v16, v12, v16
	v_fma_f32 v18, -v7, v9, 1.0
	v_fmac_f32_e32 v9, v18, v9
	v_mul_f32_e32 v18, v11, v9
	v_fma_f32 v19, -v7, v18, v11
	v_fmac_f32_e32 v18, v19, v9
	v_fma_f32 v7, -v7, v18, v11
	v_div_fmas_f32 v7, v7, v9, v18
	v_div_fixup_f32 v7, v7, v12, v16
	v_cmp_ngt_f32_e64 s[0:1], |v7|, s18
	s_or_b64 s[16:17], s[0:1], s[16:17]
	s_andn2_b64 exec, exec, s[16:17]
	s_cbranch_execnz .LBB19_103
; %bb.104:
	s_or_b64 exec, exec, s[16:17]
	s_mov_b32 s0, 0x3eb5c63d
	s_mov_b32 s1, 0x3e8483fa
	v_pk_mul_f32 v[12:13], v[12:13], s[0:1]
	v_sub_f32_e32 v5, v12, v13
	v_cndmask_b32_e64 v1, v1, v5, s[4:5]
.LBB19_105:
	s_or_b64 exec, exec, s[14:15]
                                        ; implicit-def: $vgpr13
.LBB19_106:
	s_andn2_saveexec_b64 s[14:15], s[2:3]
	s_cbranch_execz .LBB19_116
; %bb.107:
	s_mov_b32 s0, 0x8f800000
	v_mul_f32_e32 v1, 0xcf800000, v13
	v_cmp_lt_f32_e32 vcc, s0, v13
	v_cndmask_b32_e64 v1, -v13, v1, vcc
	v_sqrt_f32_e32 v5, v1
	v_mul_f32_e32 v7, -2.0, v13
	s_mov_b32 s2, 0x40400000
	v_add_u32_e32 v9, -1, v5
	v_fma_f32 v11, -v9, v5, v1
	v_cmp_ge_f32_e64 s[0:1], 0, v11
	v_add_u32_e32 v11, 1, v5
	v_cndmask_b32_e64 v9, v5, v9, s[0:1]
	v_fma_f32 v5, -v11, v5, v1
	v_cmp_lt_f32_e64 s[0:1], 0, v5
	v_cndmask_b32_e64 v5, v9, v11, s[0:1]
	v_mul_f32_e32 v9, 0x37800000, v5
	v_cndmask_b32_e32 v5, v5, v9, vcc
	v_mov_b32_e32 v9, 0x260
	v_cmp_class_f32_e32 vcc, v1, v9
	v_cndmask_b32_e32 v1, v5, v1, vcc
	v_mul_f32_e32 v5, v7, v1
	v_div_scale_f32 v7, s[0:1], s2, s2, v5
	v_rcp_f32_e32 v9, v7
	s_brev_b32 s0, 18
	v_fma_f32 v11, -v7, v9, 1.0
	v_fmac_f32_e32 v9, v11, v9
	v_div_scale_f32 v11, vcc, v5, s2, v5
	v_mul_f32_e32 v12, v11, v9
	v_fma_f32 v13, -v7, v12, v11
	v_fmac_f32_e32 v12, v13, v9
	v_fma_f32 v7, -v7, v12, v11
	v_div_fmas_f32 v7, v7, v9, v12
	v_div_fixup_f32 v9, v7, s2, v5
	v_add_f32_e32 v5, 0x3f490fdb, v9
	v_and_b32_e32 v7, 0x7fffffff, v5
	v_cmp_nlt_f32_e64 s[16:17], |v5|, s0
                                        ; implicit-def: $vgpr11
                                        ; implicit-def: $vgpr12
	s_and_saveexec_b64 s[0:1], s[16:17]
	s_xor_b64 s[18:19], exec, s[0:1]
	s_cbranch_execz .LBB19_109
; %bb.108:
	v_lshrrev_b32_e32 v11, 23, v7
	v_add_u32_e32 v11, 0xffffff88, v11
	v_not_b32_e32 v12, 63
	v_cmp_lt_u32_e32 vcc, 63, v11
	v_cndmask_b32_e32 v12, 0, v12, vcc
	v_add_u32_e32 v11, v12, v11
	v_not_b32_e32 v12, 31
	v_cmp_lt_u32_e64 s[0:1], 31, v11
	v_cndmask_b32_e64 v14, 0, v12, s[0:1]
	v_add_u32_e32 v11, v14, v11
	v_cmp_lt_u32_e64 s[2:3], 31, v11
	v_cndmask_b32_e64 v12, 0, v12, s[2:3]
	v_add_u32_e32 v11, v12, v11
	v_and_b32_e32 v12, 0x7fffff, v7
	v_or_b32_e32 v26, 0x800000, v12
	s_mov_b32 s4, 0xfe5163ab
	v_mad_u64_u32 v[14:15], s[4:5], v26, s4, 0
	v_mov_b32_e32 v13, 0
	v_mov_b32_e32 v12, v15
	s_mov_b32 s4, 0x3c439041
	v_mad_u64_u32 v[16:17], s[4:5], v26, s4, v[12:13]
	v_mov_b32_e32 v12, v17
	s_mov_b32 s4, 0xdb629599
	v_mad_u64_u32 v[18:19], s[4:5], v26, s4, v[12:13]
	;; [unrolled: 3-line block ×6, first 2 shown]
	v_cndmask_b32_e32 v15, v24, v20, vcc
	v_cndmask_b32_e32 v12, v12, v22, vcc
	;; [unrolled: 1-line block ×3, first 2 shown]
	v_cndmask_b32_e64 v17, v12, v15, s[0:1]
	v_cndmask_b32_e64 v12, v13, v12, s[0:1]
	v_cndmask_b32_e32 v13, v22, v18, vcc
	v_cndmask_b32_e64 v15, v15, v13, s[0:1]
	v_cndmask_b32_e64 v12, v12, v17, s[2:3]
	;; [unrolled: 1-line block ×3, first 2 shown]
	v_sub_u32_e32 v19, 32, v11
	v_alignbit_b32 v21, v12, v17, v19
	v_cmp_eq_u32_e64 s[4:5], 0, v11
	v_cndmask_b32_e64 v11, v21, v12, s[4:5]
	v_cndmask_b32_e32 v12, v20, v16, vcc
	v_cndmask_b32_e64 v13, v13, v12, s[0:1]
	v_cndmask_b32_e64 v15, v15, v13, s[2:3]
	v_alignbit_b32 v16, v17, v15, v19
	v_cndmask_b32_e32 v14, v18, v14, vcc
	v_cndmask_b32_e64 v16, v16, v17, s[4:5]
	v_bfe_u32 v21, v11, 29, 1
	v_cndmask_b32_e64 v12, v12, v14, s[0:1]
	v_alignbit_b32 v17, v11, v16, 30
	v_sub_u32_e32 v22, 0, v21
	v_cndmask_b32_e64 v12, v13, v12, s[2:3]
	v_xor_b32_e32 v23, v17, v22
	v_alignbit_b32 v13, v15, v12, v19
	v_cndmask_b32_e64 v13, v13, v15, s[4:5]
	v_ffbh_u32_e32 v15, v23
	v_add_u32_e32 v15, 1, v15
	v_cmp_ne_u32_e32 vcc, v17, v22
	v_alignbit_b32 v14, v16, v13, 30
	v_cndmask_b32_e32 v15, 33, v15, vcc
	v_alignbit_b32 v12, v13, v12, 30
	v_xor_b32_e32 v14, v14, v22
	v_sub_u32_e32 v16, 32, v15
	v_xor_b32_e32 v12, v12, v22
	v_alignbit_b32 v17, v23, v14, v16
	v_alignbit_b32 v12, v14, v12, v16
	;; [unrolled: 1-line block ×3, first 2 shown]
	v_ffbh_u32_e32 v14, v13
	v_min_u32_e32 v14, 32, v14
	v_lshrrev_b32_e32 v20, 29, v11
	v_sub_u32_e32 v16, 31, v14
	v_alignbit_b32 v12, v13, v12, v16
	v_lshlrev_b32_e32 v13, 31, v20
	v_or_b32_e32 v16, 0x33800000, v13
	v_add_lshl_u32 v14, v14, v15, 23
	v_lshrrev_b32_e32 v12, 9, v12
	v_sub_u32_e32 v14, v16, v14
	v_or_b32_e32 v12, v14, v12
	v_alignbit_b32 v14, v15, v17, 9
	v_or_b32_e32 v13, v14, v13
	v_xor_b32_e32 v13, 1.0, v13
	s_mov_b32 s0, 0x3fc90fda
	v_mul_f32_e32 v14, 0x3fc90fda, v13
	v_fma_f32 v15, v13, s0, -v14
	v_fmac_f32_e32 v15, 0x33a22168, v13
	v_fmac_f32_e32 v15, 0x3fc90fda, v12
	v_lshrrev_b32_e32 v11, 30, v11
	v_add_f32_e32 v12, v14, v15
	v_add_u32_e32 v11, v21, v11
	s_andn2_saveexec_b64 s[0:1], s[18:19]
	s_branch .LBB19_110
.LBB19_109:
	s_andn2_saveexec_b64 s[0:1], s[18:19]
.LBB19_110:
	s_mov_b32 s2, 0x3f22f983
	v_mul_f32_e64 v11, |v5|, s2
	v_rndne_f32_e32 v13, v11
	s_mov_b32 s2, 0xbfc90fda
	v_cvt_i32_f32_e32 v11, v13
	v_fma_f32 v12, v13, s2, |v5|
	v_fmac_f32_e32 v12, 0xb3a22168, v13
	v_fmac_f32_e32 v12, 0xa7c234c4, v13
; %bb.111:
	s_or_b64 exec, exec, s[0:1]
                                        ; implicit-def: $vgpr13
                                        ; implicit-def: $vgpr14
	s_and_saveexec_b64 s[0:1], s[16:17]
	s_xor_b64 s[16:17], exec, s[0:1]
	s_cbranch_execz .LBB19_113
; %bb.112:
	v_lshrrev_b32_e32 v13, 23, v7
	v_add_u32_e32 v13, 0xffffff88, v13
	v_not_b32_e32 v14, 63
	v_cmp_lt_u32_e32 vcc, 63, v13
	v_cndmask_b32_e32 v14, 0, v14, vcc
	v_add_u32_e32 v13, v14, v13
	v_not_b32_e32 v14, 31
	v_cmp_lt_u32_e64 s[0:1], 31, v13
	v_cndmask_b32_e64 v16, 0, v14, s[0:1]
	v_add_u32_e32 v13, v16, v13
	v_cmp_lt_u32_e64 s[2:3], 31, v13
	v_cndmask_b32_e64 v14, 0, v14, s[2:3]
	v_add_u32_e32 v13, v14, v13
	v_and_b32_e32 v14, 0x7fffff, v7
	v_or_b32_e32 v28, 0x800000, v14
	s_mov_b32 s4, 0xfe5163ab
	v_mad_u64_u32 v[16:17], s[4:5], v28, s4, 0
	v_mov_b32_e32 v15, 0
	v_mov_b32_e32 v14, v17
	s_mov_b32 s4, 0x3c439041
	v_mad_u64_u32 v[18:19], s[4:5], v28, s4, v[14:15]
	v_mov_b32_e32 v14, v19
	s_mov_b32 s4, 0xdb629599
	v_mad_u64_u32 v[20:21], s[4:5], v28, s4, v[14:15]
	;; [unrolled: 3-line block ×6, first 2 shown]
	v_cndmask_b32_e32 v17, v26, v22, vcc
	v_cndmask_b32_e32 v14, v14, v24, vcc
	;; [unrolled: 1-line block ×3, first 2 shown]
	v_cndmask_b32_e64 v19, v14, v17, s[0:1]
	v_cndmask_b32_e64 v14, v15, v14, s[0:1]
	v_cndmask_b32_e32 v15, v24, v20, vcc
	v_cndmask_b32_e64 v17, v17, v15, s[0:1]
	v_cndmask_b32_e64 v14, v14, v19, s[2:3]
	;; [unrolled: 1-line block ×3, first 2 shown]
	v_sub_u32_e32 v21, 32, v13
	v_alignbit_b32 v23, v14, v19, v21
	v_cmp_eq_u32_e64 s[4:5], 0, v13
	v_cndmask_b32_e64 v13, v23, v14, s[4:5]
	v_cndmask_b32_e32 v14, v22, v18, vcc
	v_cndmask_b32_e64 v15, v15, v14, s[0:1]
	v_cndmask_b32_e64 v17, v17, v15, s[2:3]
	v_alignbit_b32 v18, v19, v17, v21
	v_cndmask_b32_e32 v16, v20, v16, vcc
	v_cndmask_b32_e64 v18, v18, v19, s[4:5]
	v_bfe_u32 v23, v13, 29, 1
	v_cndmask_b32_e64 v14, v14, v16, s[0:1]
	v_alignbit_b32 v19, v13, v18, 30
	v_sub_u32_e32 v24, 0, v23
	v_cndmask_b32_e64 v14, v15, v14, s[2:3]
	v_xor_b32_e32 v25, v19, v24
	v_alignbit_b32 v15, v17, v14, v21
	v_cndmask_b32_e64 v15, v15, v17, s[4:5]
	v_ffbh_u32_e32 v17, v25
	v_add_u32_e32 v17, 1, v17
	v_cmp_ne_u32_e32 vcc, v19, v24
	v_alignbit_b32 v16, v18, v15, 30
	v_cndmask_b32_e32 v17, 33, v17, vcc
	v_alignbit_b32 v14, v15, v14, 30
	v_xor_b32_e32 v16, v16, v24
	v_sub_u32_e32 v18, 32, v17
	v_xor_b32_e32 v14, v14, v24
	v_alignbit_b32 v19, v25, v16, v18
	v_alignbit_b32 v14, v16, v14, v18
	;; [unrolled: 1-line block ×3, first 2 shown]
	v_ffbh_u32_e32 v16, v15
	v_min_u32_e32 v16, 32, v16
	v_lshrrev_b32_e32 v22, 29, v13
	v_sub_u32_e32 v18, 31, v16
	v_alignbit_b32 v14, v15, v14, v18
	v_lshlrev_b32_e32 v15, 31, v22
	v_or_b32_e32 v18, 0x33800000, v15
	v_add_lshl_u32 v16, v16, v17, 23
	v_lshrrev_b32_e32 v14, 9, v14
	v_sub_u32_e32 v16, v18, v16
	v_or_b32_e32 v14, v16, v14
	v_alignbit_b32 v16, v17, v19, 9
	v_or_b32_e32 v15, v16, v15
	v_xor_b32_e32 v15, 1.0, v15
	s_mov_b32 s0, 0x3fc90fda
	v_mul_f32_e32 v16, 0x3fc90fda, v15
	v_fma_f32 v17, v15, s0, -v16
	v_fmac_f32_e32 v17, 0x33a22168, v15
	v_fmac_f32_e32 v17, 0x3fc90fda, v14
	v_lshrrev_b32_e32 v13, 30, v13
	v_add_f32_e32 v14, v16, v17
	v_add_u32_e32 v13, v23, v13
	s_andn2_saveexec_b64 s[0:1], s[16:17]
	s_cbranch_execnz .LBB19_114
	s_branch .LBB19_115
.LBB19_113:
	s_andn2_saveexec_b64 s[0:1], s[16:17]
.LBB19_114:
	s_mov_b32 s2, 0x3f22f983
	v_mul_f32_e64 v13, |v5|, s2
	v_rndne_f32_e32 v15, v13
	s_mov_b32 s2, 0xbfc90fda
	v_cvt_i32_f32_e32 v13, v15
	v_fma_f32 v14, v15, s2, |v5|
	v_fmac_f32_e32 v14, 0xb3a22168, v15
	v_fmac_f32_e32 v14, 0xa7c234c4, v15
.LBB19_115:
	s_or_b64 exec, exec, s[0:1]
	v_div_scale_f32 v15, s[0:1], v9, v9, 1.0
	v_rcp_f32_e32 v16, v15
	v_div_scale_f32 v17, vcc, 1.0, v9, 1.0
	v_mov_b32_e32 v22, 0xbab64f3b
	v_fma_f32 v18, -v15, v16, 1.0
	v_fmac_f32_e32 v16, v18, v16
	v_mul_f32_e32 v18, v17, v16
	v_fma_f32 v19, -v15, v18, v17
	v_fmac_f32_e32 v18, v19, v16
	v_fma_f32 v15, -v15, v18, v17
	v_div_fmas_f32 v15, v15, v16, v18
	v_div_fixup_f32 v9, v15, v9, 1.0
	v_mul_f32_e32 v15, v9, v9
	v_mov_b32_e32 v16, 0xbe06db67
	v_fmac_f32_e32 v16, 0, v15
	v_mov_b32_e32 v17, 0xbf205f75
	v_fmac_f32_e32 v17, v15, v16
	;; [unrolled: 2-line block ×18, first 2 shown]
	v_mul_f32_e32 v17, v12, v12
	v_mov_b32_e32 v20, 0x3c0881c4
	v_fmac_f32_e32 v22, 0x37d75334, v17
	v_mov_b32_e32 v23, 0x3d2aabf7
	v_fmac_f32_e32 v20, 0xb94c1982, v17
	v_mov_b32_e32 v21, 0xbe2aaa9d
	v_fma_f32 v22, v17, v22, v23
	v_mov_b32_e32 v24, 0xbf000004
	v_fma_f32 v20, v17, v20, v21
	v_fma_f32 v22, v17, v22, v24
	v_mul_f32_e32 v20, v17, v20
	v_fma_f32 v17, v17, v22, 1.0
	v_and_b32_e32 v22, 1, v11
	v_lshlrev_b32_e32 v11, 30, v11
	v_fmac_f32_e32 v12, v12, v20
	v_cmp_eq_u32_e32 vcc, 0, v22
	v_and_b32_e32 v11, 0x80000000, v11
	v_xor_b32_e32 v7, v7, v5
	v_cndmask_b32_e32 v12, v17, v12, vcc
	v_xor_b32_e32 v7, v7, v11
	v_mul_f32_e32 v11, v15, v18
	v_xor_b32_e32 v7, v7, v12
	v_div_scale_f32 v12, s[0:1], v16, v16, v11
	v_rcp_f32_e32 v17, v12
	s_movk_i32 s2, 0x1f8
	v_mov_b32_e32 v18, 0x7fc00000
	v_cmp_class_f32_e64 s[0:1], v5, s2
	v_cndmask_b32_e64 v5, v18, v7, s[0:1]
	v_fma_f32 v7, -v12, v17, 1.0
	v_fmac_f32_e32 v17, v7, v17
	v_div_scale_f32 v7, vcc, v11, v16, v11
	v_mul_f32_e32 v22, v7, v17
	v_fma_f32 v25, -v12, v22, v7
	v_fmac_f32_e32 v22, v25, v17
	v_fma_f32 v7, -v12, v22, v7
	v_div_fmas_f32 v7, v7, v17, v22
	v_div_fixup_f32 v7, v7, v16, v11
	v_mov_b32_e32 v11, 0x3ca1a92f
	v_fmac_f32_e32 v11, 0, v15
	v_mov_b32_e32 v12, 0x3ec83ea8
	v_fmac_f32_e32 v12, v15, v11
	;; [unrolled: 2-line block ×17, first 2 shown]
	v_mov_b32_e32 v12, 0x3b873823
	s_mov_b32 s2, 0xf800000
	v_fmac_f32_e32 v12, v15, v16
	v_mul_f32_e32 v16, 0x4f800000, v1
	v_cmp_gt_f32_e32 vcc, s2, v1
	v_cndmask_b32_e32 v1, v1, v16, vcc
	v_sqrt_f32_e32 v16, v1
	s_mov_b32 s4, 0x3f106ebb
	v_mov_b32_e32 v17, 0x38d45b0f
	v_fmac_f32_e32 v17, v15, v12
	v_add_u32_e32 v22, -1, v16
	v_fma_f32 v25, -v22, v16, v1
	v_cmp_ge_f32_e64 s[2:3], 0, v25
	v_add_u32_e32 v25, 1, v16
	v_cndmask_b32_e64 v22, v16, v22, s[2:3]
	v_fma_f32 v16, -v25, v16, v1
	v_cmp_lt_f32_e64 s[2:3], 0, v16
	v_cndmask_b32_e64 v16, v22, v25, s[2:3]
	v_mul_f32_e32 v22, 0x37800000, v16
	v_cndmask_b32_e32 v16, v16, v22, vcc
	v_mov_b32_e32 v22, 0x260
	v_cmp_class_f32_e32 vcc, v1, v22
	v_cndmask_b32_e32 v1, v16, v1, vcc
	v_div_scale_f32 v16, s[2:3], v1, v1, s4
	v_rcp_f32_e32 v22, v16
	v_mov_b32_e32 v12, 0x359d422f
	v_fmac_f32_e32 v12, v15, v17
	v_mov_b32_e32 v17, 0x31a8fe3a
	v_fmac_f32_e32 v17, v15, v12
	v_fma_f32 v12, -v16, v22, 1.0
	v_fmac_f32_e32 v22, v12, v22
	v_div_scale_f32 v12, vcc, s4, v1, s4
	v_mul_f32_e32 v15, v12, v22
	v_fma_f32 v25, -v16, v15, v12
	v_fmac_f32_e32 v15, v25, v22
	v_fma_f32 v12, -v16, v15, v12
	v_div_fmas_f32 v12, v12, v22, v15
	v_mov_b32_e32 v19, 0x3c0881c4
	v_div_fixup_f32 v1, v12, v1, s4
	v_mul_f32_e32 v12, v14, v14
	v_mov_b32_e32 v20, 0xbab64f3b
	v_fmac_f32_e32 v19, 0xb94c1982, v12
	v_fmac_f32_e32 v21, v12, v19
	;; [unrolled: 1-line block ×3, first 2 shown]
	v_mul_f32_e32 v15, v12, v21
	v_fmac_f32_e32 v23, v12, v20
	v_fmac_f32_e32 v14, v14, v15
	;; [unrolled: 1-line block ×3, first 2 shown]
	v_and_b32_e32 v15, 1, v13
	v_mul_f32_e32 v9, v9, v11
	v_fma_f32 v12, v12, v24, 1.0
	v_cmp_eq_u32_e32 vcc, 0, v15
	v_div_scale_f32 v11, s[2:3], v17, v17, v9
	v_cndmask_b32_e64 v12, -v14, v12, vcc
	v_rcp_f32_e32 v14, v11
	v_lshlrev_b32_e32 v13, 30, v13
	v_and_b32_e32 v13, 0x80000000, v13
	v_xor_b32_e32 v12, v13, v12
	v_fma_f32 v13, -v11, v14, 1.0
	v_fmac_f32_e32 v14, v13, v14
	v_div_scale_f32 v13, vcc, v9, v17, v9
	v_mul_f32_e32 v15, v13, v14
	v_fma_f32 v16, -v11, v15, v13
	v_fmac_f32_e32 v15, v16, v14
	v_fma_f32 v11, -v11, v15, v13
	v_div_fmas_f32 v11, v11, v14, v15
	v_cndmask_b32_e64 v12, v18, v12, s[0:1]
	v_div_fixup_f32 v9, v11, v17, v9
	v_add_f32_e32 v7, 1.0, v7
	v_mul_f32_e32 v9, v9, v12
	v_fma_f32 v5, v7, v5, -v9
	v_mul_f32_e32 v1, v1, v5
.LBB19_116:
	s_or_b64 exec, exec, s[14:15]
.LBB19_117:
	s_or_b64 exec, exec, s[12:13]
.LBB19_118:
	s_or_b64 exec, exec, s[6:7]
	global_load_dword v11, v10, s[10:11]
	s_mov_b32 s20, 0x7f800000
	v_mov_b32_e32 v5, 0x7fc00000
	v_mov_b32_e32 v7, 0x7fc00000
	s_waitcnt vmcnt(0)
	v_cmp_neq_f32_e64 s[0:1], |v11|, s20
	s_and_saveexec_b64 s[6:7], s[0:1]
	s_cbranch_execz .LBB19_140
; %bb.119:
	s_mov_b32 s0, 0x42cfc8b4
	v_cmp_nlt_f32_e32 vcc, s0, v11
	v_mov_b32_e32 v7, 0
	s_and_saveexec_b64 s[12:13], vcc
	s_cbranch_execz .LBB19_139
; %bb.120:
	s_mov_b32 s0, 0xc005c28f
	v_cmp_ngt_f32_e32 vcc, s0, v11
                                        ; implicit-def: $vgpr7
	s_and_saveexec_b64 s[0:1], vcc
	s_xor_b64 s[2:3], exec, s[0:1]
	s_cbranch_execz .LBB19_128
; %bb.121:
	s_mov_b32 s0, 0x4005c28f
	v_cmp_nle_f32_e64 s[4:5], s0, v11
	v_cmp_le_f32_e32 vcc, s0, v11
	v_mov_b32_e32 v7, 0
	s_mov_b64 s[0:1], s[4:5]
	s_and_saveexec_b64 s[14:15], vcc
	s_cbranch_execz .LBB19_123
; %bb.122:
	s_mov_b32 s16, 0xf800000
	v_mul_f32_e32 v7, 0x4f800000, v11
	v_cmp_gt_f32_e32 vcc, s16, v11
	v_cndmask_b32_e32 v7, v11, v7, vcc
	v_sqrt_f32_e32 v9, v7
	v_add_f32_e32 v10, v11, v11
	s_mov_b32 s17, 0x40400000
	v_add_u32_e32 v12, -1, v9
	v_fma_f32 v13, -v12, v9, v7
	v_cmp_ge_f32_e64 s[0:1], 0, v13
	v_add_u32_e32 v13, 1, v9
	v_cndmask_b32_e64 v12, v9, v12, s[0:1]
	v_fma_f32 v9, -v13, v9, v7
	v_cmp_lt_f32_e64 s[0:1], 0, v9
	v_cndmask_b32_e64 v9, v12, v13, s[0:1]
	v_mul_f32_e32 v12, 0x37800000, v9
	v_mov_b32_e32 v13, 0x260
	v_cndmask_b32_e32 v9, v9, v12, vcc
	v_cmp_class_f32_e32 vcc, v7, v13
	v_cndmask_b32_e32 v7, v9, v7, vcc
	v_mul_f32_e32 v9, v10, v7
	v_div_scale_f32 v10, s[0:1], s17, s17, v9
	v_rcp_f32_e32 v12, v10
	v_fma_f32 v14, -v10, v12, 1.0
	v_fmac_f32_e32 v12, v14, v12
	v_div_scale_f32 v14, vcc, v9, s17, v9
	v_mul_f32_e32 v15, v14, v12
	v_fma_f32 v16, -v10, v15, v14
	v_fmac_f32_e32 v15, v16, v12
	v_fma_f32 v10, -v10, v15, v14
	v_div_fmas_f32 v10, v10, v12, v15
	v_div_fixup_f32 v9, v10, s17, v9
	v_div_scale_f32 v10, s[0:1], v9, v9, 1.0
	v_rcp_f32_e32 v12, v10
	v_fma_f32 v14, -v10, v12, 1.0
	v_fmac_f32_e32 v12, v14, v12
	v_div_scale_f32 v14, vcc, 1.0, v9, 1.0
	v_mul_f32_e32 v15, v14, v12
	v_fma_f32 v16, -v10, v15, v14
	v_fmac_f32_e32 v15, v16, v12
	v_fma_f32 v10, -v10, v15, v14
	v_div_fmas_f32 v10, v10, v12, v15
	v_div_fixup_f32 v10, v10, v9, 1.0
	v_mov_b32_e32 v12, 0x3eb16d71
	v_fmac_f32_e32 v12, 0, v10
	v_mov_b32_e32 v14, 0x41401f1c
	v_fmac_f32_e32 v14, v10, v12
	;; [unrolled: 2-line block ×14, first 2 shown]
	v_fma_f32 v14, v10, v14, 1.0
	v_fma_f32 v10, v10, v12, 1.0
	v_div_scale_f32 v12, s[0:1], v14, v14, v10
	v_rcp_f32_e32 v15, v12
	v_cmp_gt_f32_e64 s[0:1], s16, v7
	v_fma_f32 v16, -v12, v15, 1.0
	v_fmac_f32_e32 v15, v16, v15
	v_div_scale_f32 v16, vcc, v10, v14, v10
	v_mul_f32_e32 v17, v16, v15
	v_fma_f32 v18, -v12, v17, v16
	v_fmac_f32_e32 v17, v18, v15
	v_fma_f32 v12, -v12, v17, v16
	v_mul_f32_e32 v16, 0x4f800000, v7
	v_cndmask_b32_e64 v7, v7, v16, s[0:1]
	v_sqrt_f32_e32 v16, v7
	v_div_fmas_f32 v12, v12, v15, v17
	v_div_fixup_f32 v12, v12, v14, v10
	v_add_u32_e32 v10, -1, v16
	v_fma_f32 v14, -v10, v16, v7
	v_cmp_ge_f32_e32 vcc, 0, v14
	v_add_u32_e32 v14, 1, v16
	v_fma_f32 v15, -v14, v16, v7
	v_cndmask_b32_e32 v10, v16, v10, vcc
	v_cmp_lt_f32_e32 vcc, 0, v15
	v_cndmask_b32_e32 v10, v10, v14, vcc
	v_mul_f32_e32 v14, 0x37800000, v10
	v_cndmask_b32_e64 v10, v10, v14, s[0:1]
	v_cmp_class_f32_e32 vcc, v7, v13
	v_cndmask_b32_e32 v13, v10, v7, vcc
	s_mov_b32 s0, 0x3fb8aa3b
	v_mul_f32_e32 v7, 0x3fb8aa3b, v9
	v_fma_f32 v10, v9, s0, -v7
	v_rndne_f32_e32 v14, v7
	v_fmac_f32_e32 v10, 0x32a5705f, v9
	v_sub_f32_e32 v7, v7, v14
	v_add_f32_e32 v7, v7, v10
	v_exp_f32_e32 v7, v7
	v_cvt_i32_f32_e32 v10, v14
	s_mov_b32 s0, 0x3f106ebb
	s_mov_b32 s1, 2.0
	v_pk_mul_f32 v[12:13], v[12:13], s[0:1]
	s_mov_b32 s0, 0xc2ce8ed0
	v_ldexp_f32 v7, v7, v10
	v_cmp_ngt_f32_e32 vcc, s0, v9
	s_mov_b32 s0, 0x42b17218
	v_cndmask_b32_e32 v7, 0, v7, vcc
	v_mov_b32_e32 v10, 0x7f800000
	v_cmp_nlt_f32_e32 vcc, s0, v9
	v_cndmask_b32_e32 v7, v10, v7, vcc
	v_mul_f32_e32 v7, v13, v7
	v_div_scale_f32 v9, s[0:1], v7, v7, v12
	v_rcp_f32_e32 v10, v9
	s_mov_b32 s0, 0x41052018
	v_fma_f32 v13, -v9, v10, 1.0
	v_fmac_f32_e32 v10, v13, v10
	v_div_scale_f32 v13, vcc, v12, v7, v12
	v_mul_f32_e32 v14, v13, v10
	v_fma_f32 v15, -v9, v14, v13
	v_fmac_f32_e32 v14, v15, v10
	v_fma_f32 v9, -v9, v14, v13
	v_div_fmas_f32 v9, v9, v10, v14
	v_cmp_nlt_f32_e32 vcc, s0, v11
	s_andn2_b64 s[0:1], s[4:5], exec
	s_and_b64 s[16:17], vcc, exec
	v_div_fixup_f32 v7, v9, v7, v12
	s_or_b64 s[0:1], s[0:1], s[16:17]
.LBB19_123:
	s_or_b64 exec, exec, s[14:15]
	s_and_saveexec_b64 s[14:15], s[0:1]
	s_cbranch_execz .LBB19_127
; %bb.124:
	v_mul_f32_e32 v9, v11, v11
	v_mul_f32_e32 v12, v11, v9
	v_mov_b32_e32 v9, 1.0
	v_mov_b32_e32 v13, v12
	s_mov_b64 s[16:17], 0
	s_brev_b32 s18, 44
	v_mov_b32_e32 v10, v9
	v_mov_b32_e32 v14, 1.0
	v_mov_b32_e32 v15, v11
.LBB19_125:                             ; =>This Inner Loop Header: Depth=1
	v_pk_mul_f32 v[14:15], v[12:13], v[14:15]
	v_add_f32_e32 v16, 1.0, v9
	v_add_f32_e32 v17, 1.0, v16
	v_div_scale_f32 v18, s[0:1], v16, v16, v14
	v_rcp_f32_e32 v20, v18
	v_div_scale_f32 v21, s[0:1], v17, v17, v15
	v_rcp_f32_e32 v23, v21
	v_fma_f32 v24, -v18, v20, 1.0
	v_div_scale_f32 v19, vcc, v14, v16, v14
	v_fmac_f32_e32 v20, v24, v20
	v_fma_f32 v24, -v21, v23, 1.0
	v_div_scale_f32 v22, s[0:1], v15, v17, v15
	v_mul_f32_e32 v25, v19, v20
	v_fmac_f32_e32 v23, v24, v23
	v_fma_f32 v24, -v18, v25, v19
	v_mul_f32_e32 v26, v22, v23
	v_fmac_f32_e32 v25, v24, v20
	v_fma_f32 v24, -v21, v26, v22
	v_fma_f32 v18, -v18, v25, v19
	v_fmac_f32_e32 v26, v24, v23
	v_div_fmas_f32 v18, v18, v20, v25
	v_fma_f32 v19, -v21, v26, v22
	s_mov_b64 vcc, s[0:1]
	v_div_fixup_f32 v14, v18, v16, v14
	v_div_fmas_f32 v16, v19, v23, v26
	v_add_f32_e32 v9, 1.0, v17
	v_div_fixup_f32 v15, v16, v17, v15
	v_div_scale_f32 v16, s[0:1], v17, v17, v14
	v_div_scale_f32 v19, s[22:23], v9, v9, v15
	v_rcp_f32_e32 v21, v16
	v_rcp_f32_e32 v22, v19
	v_div_scale_f32 v18, s[0:1], v14, v17, v14
	v_fma_f32 v23, -v16, v21, 1.0
	v_fma_f32 v24, -v19, v22, 1.0
	v_div_scale_f32 v20, vcc, v15, v9, v15
	v_fmac_f32_e32 v21, v23, v21
	v_fmac_f32_e32 v22, v24, v22
	v_mul_f32_e32 v23, v18, v21
	v_mul_f32_e32 v24, v20, v22
	v_fma_f32 v25, -v16, v23, v18
	v_fma_f32 v26, -v19, v24, v20
	v_fmac_f32_e32 v23, v25, v21
	v_fmac_f32_e32 v24, v26, v22
	v_fma_f32 v16, -v16, v23, v18
	v_fma_f32 v18, -v19, v24, v20
	v_div_fmas_f32 v18, v18, v22, v24
	s_mov_b64 vcc, s[0:1]
	v_div_fmas_f32 v16, v16, v21, v23
	v_div_fixup_f32 v15, v18, v9, v15
	v_div_fixup_f32 v14, v16, v17, v14
	v_pk_add_f32 v[10:11], v[10:11], v[14:15]
	v_div_scale_f32 v16, s[0:1], v10, v10, v14
	v_rcp_f32_e32 v17, v16
	v_div_scale_f32 v18, vcc, v14, v10, v14
	v_fma_f32 v19, -v16, v17, 1.0
	v_fmac_f32_e32 v17, v19, v17
	v_mul_f32_e32 v19, v18, v17
	v_fma_f32 v20, -v16, v19, v18
	v_fmac_f32_e32 v19, v20, v17
	v_fma_f32 v16, -v16, v19, v18
	v_div_fmas_f32 v16, v16, v17, v19
	v_div_fixup_f32 v16, v16, v10, v14
	v_cmp_ngt_f32_e64 s[0:1], |v16|, s18
	s_or_b64 s[16:17], s[0:1], s[16:17]
	s_andn2_b64 exec, exec, s[16:17]
	s_cbranch_execnz .LBB19_125
; %bb.126:
	s_or_b64 exec, exec, s[16:17]
	s_mov_b32 s0, 0x3eb5c63d
	s_mov_b32 s1, 0x3e8483fa
	v_pk_mul_f32 v[10:11], v[10:11], s[0:1]
	v_sub_f32_e32 v9, v10, v11
	v_cndmask_b32_e64 v7, v7, v9, s[4:5]
.LBB19_127:
	s_or_b64 exec, exec, s[14:15]
                                        ; implicit-def: $vgpr11
.LBB19_128:
	s_andn2_saveexec_b64 s[14:15], s[2:3]
	s_cbranch_execz .LBB19_138
; %bb.129:
	s_mov_b32 s0, 0x8f800000
	v_mul_f32_e32 v7, 0xcf800000, v11
	v_cmp_lt_f32_e32 vcc, s0, v11
	v_cndmask_b32_e64 v7, -v11, v7, vcc
	v_sqrt_f32_e32 v9, v7
	v_mul_f32_e32 v10, -2.0, v11
	s_mov_b32 s2, 0x40400000
	v_add_u32_e32 v11, -1, v9
	v_fma_f32 v12, -v11, v9, v7
	v_cmp_ge_f32_e64 s[0:1], 0, v12
	v_add_u32_e32 v12, 1, v9
	v_cndmask_b32_e64 v11, v9, v11, s[0:1]
	v_fma_f32 v9, -v12, v9, v7
	v_cmp_lt_f32_e64 s[0:1], 0, v9
	v_cndmask_b32_e64 v9, v11, v12, s[0:1]
	v_mul_f32_e32 v11, 0x37800000, v9
	v_cndmask_b32_e32 v9, v9, v11, vcc
	v_mov_b32_e32 v11, 0x260
	v_cmp_class_f32_e32 vcc, v7, v11
	v_cndmask_b32_e32 v7, v9, v7, vcc
	v_mul_f32_e32 v9, v10, v7
	v_div_scale_f32 v10, s[0:1], s2, s2, v9
	v_rcp_f32_e32 v11, v10
	s_brev_b32 s0, 18
	v_fma_f32 v12, -v10, v11, 1.0
	v_fmac_f32_e32 v11, v12, v11
	v_div_scale_f32 v12, vcc, v9, s2, v9
	v_mul_f32_e32 v13, v12, v11
	v_fma_f32 v14, -v10, v13, v12
	v_fmac_f32_e32 v13, v14, v11
	v_fma_f32 v10, -v10, v13, v12
	v_div_fmas_f32 v10, v10, v11, v13
	v_div_fixup_f32 v11, v10, s2, v9
	v_add_f32_e32 v9, 0x3f490fdb, v11
	v_and_b32_e32 v10, 0x7fffffff, v9
	v_cmp_nlt_f32_e64 s[16:17], |v9|, s0
                                        ; implicit-def: $vgpr12
                                        ; implicit-def: $vgpr13
	s_and_saveexec_b64 s[0:1], s[16:17]
	s_xor_b64 s[18:19], exec, s[0:1]
	s_cbranch_execz .LBB19_131
; %bb.130:
	v_lshrrev_b32_e32 v12, 23, v10
	v_add_u32_e32 v12, 0xffffff88, v12
	v_not_b32_e32 v14, 63
	v_cmp_lt_u32_e32 vcc, 63, v12
	v_cndmask_b32_e32 v14, 0, v14, vcc
	v_add_u32_e32 v12, v14, v12
	v_not_b32_e32 v14, 31
	v_cmp_lt_u32_e64 s[0:1], 31, v12
	v_cndmask_b32_e64 v15, 0, v14, s[0:1]
	v_add_u32_e32 v12, v15, v12
	v_cmp_lt_u32_e64 s[2:3], 31, v12
	v_cndmask_b32_e64 v14, 0, v14, s[2:3]
	v_add_u32_e32 v26, v14, v12
	v_and_b32_e32 v12, 0x7fffff, v10
	v_or_b32_e32 v27, 0x800000, v12
	s_mov_b32 s4, 0xfe5163ab
	v_mad_u64_u32 v[14:15], s[4:5], v27, s4, 0
	v_mov_b32_e32 v13, 0
	v_mov_b32_e32 v12, v15
	s_mov_b32 s4, 0x3c439041
	v_mad_u64_u32 v[16:17], s[4:5], v27, s4, v[12:13]
	v_mov_b32_e32 v12, v17
	s_mov_b32 s4, 0xdb629599
	v_mad_u64_u32 v[18:19], s[4:5], v27, s4, v[12:13]
	;; [unrolled: 3-line block ×6, first 2 shown]
	v_cndmask_b32_e32 v15, v24, v20, vcc
	v_cndmask_b32_e32 v12, v12, v22, vcc
	;; [unrolled: 1-line block ×3, first 2 shown]
	v_cndmask_b32_e64 v17, v12, v15, s[0:1]
	v_cndmask_b32_e64 v12, v13, v12, s[0:1]
	v_cndmask_b32_e32 v13, v22, v18, vcc
	v_cndmask_b32_e64 v15, v15, v13, s[0:1]
	v_cndmask_b32_e32 v16, v20, v16, vcc
	v_cndmask_b32_e64 v12, v12, v17, s[2:3]
	v_cndmask_b32_e64 v17, v17, v15, s[2:3]
	v_sub_u32_e32 v19, 32, v26
	v_cndmask_b32_e64 v13, v13, v16, s[0:1]
	v_alignbit_b32 v21, v12, v17, v19
	v_cmp_eq_u32_e64 s[4:5], 0, v26
	v_cndmask_b32_e64 v15, v15, v13, s[2:3]
	v_cndmask_b32_e64 v12, v21, v12, s[4:5]
	v_alignbit_b32 v20, v17, v15, v19
	v_cndmask_b32_e64 v17, v20, v17, s[4:5]
	v_bfe_u32 v22, v12, 29, 1
	v_cndmask_b32_e32 v14, v18, v14, vcc
	v_alignbit_b32 v20, v12, v17, 30
	v_sub_u32_e32 v23, 0, v22
	v_cndmask_b32_e64 v14, v16, v14, s[0:1]
	v_xor_b32_e32 v24, v20, v23
	v_cndmask_b32_e64 v13, v13, v14, s[2:3]
	v_alignbit_b32 v14, v15, v13, v19
	v_ffbh_u32_e32 v16, v24
	v_cndmask_b32_e64 v14, v14, v15, s[4:5]
	v_add_u32_e32 v16, 1, v16
	v_cmp_ne_u32_e32 vcc, v20, v23
	v_alignbit_b32 v15, v17, v14, 30
	v_cndmask_b32_e32 v16, 33, v16, vcc
	v_alignbit_b32 v13, v14, v13, 30
	v_xor_b32_e32 v15, v15, v23
	v_sub_u32_e32 v17, 32, v16
	v_xor_b32_e32 v13, v13, v23
	v_alignbit_b32 v18, v24, v15, v17
	v_alignbit_b32 v13, v15, v13, v17
	;; [unrolled: 1-line block ×3, first 2 shown]
	v_ffbh_u32_e32 v15, v14
	v_min_u32_e32 v15, 32, v15
	v_lshrrev_b32_e32 v21, 29, v12
	v_sub_u32_e32 v17, 31, v15
	v_alignbit_b32 v13, v14, v13, v17
	v_lshlrev_b32_e32 v14, 31, v21
	v_or_b32_e32 v17, 0x33800000, v14
	v_add_lshl_u32 v15, v15, v16, 23
	v_lshrrev_b32_e32 v13, 9, v13
	v_sub_u32_e32 v15, v17, v15
	v_or_b32_e32 v13, v15, v13
	v_alignbit_b32 v15, v16, v18, 9
	v_or_b32_e32 v14, v15, v14
	v_xor_b32_e32 v14, 1.0, v14
	s_mov_b32 s0, 0x3fc90fda
	v_mul_f32_e32 v15, 0x3fc90fda, v14
	v_fma_f32 v16, v14, s0, -v15
	v_fmac_f32_e32 v16, 0x33a22168, v14
	v_fmac_f32_e32 v16, 0x3fc90fda, v13
	v_lshrrev_b32_e32 v12, 30, v12
	v_add_f32_e32 v13, v15, v16
	v_add_u32_e32 v12, v22, v12
	s_andn2_saveexec_b64 s[0:1], s[18:19]
	s_branch .LBB19_132
.LBB19_131:
	s_andn2_saveexec_b64 s[0:1], s[18:19]
.LBB19_132:
	s_mov_b32 s2, 0x3f22f983
	v_mul_f32_e64 v12, |v9|, s2
	v_rndne_f32_e32 v14, v12
	s_mov_b32 s2, 0xbfc90fda
	v_cvt_i32_f32_e32 v12, v14
	v_fma_f32 v13, v14, s2, |v9|
	v_fmac_f32_e32 v13, 0xb3a22168, v14
	v_fmac_f32_e32 v13, 0xa7c234c4, v14
; %bb.133:
	s_or_b64 exec, exec, s[0:1]
                                        ; implicit-def: $vgpr14
                                        ; implicit-def: $vgpr15
	s_and_saveexec_b64 s[0:1], s[16:17]
	s_xor_b64 s[16:17], exec, s[0:1]
	s_cbranch_execz .LBB19_135
; %bb.134:
	v_lshrrev_b32_e32 v14, 23, v10
	v_add_u32_e32 v14, 0xffffff88, v14
	v_not_b32_e32 v16, 63
	v_cmp_lt_u32_e32 vcc, 63, v14
	v_cndmask_b32_e32 v16, 0, v16, vcc
	v_add_u32_e32 v14, v16, v14
	v_not_b32_e32 v16, 31
	v_cmp_lt_u32_e64 s[0:1], 31, v14
	v_cndmask_b32_e64 v17, 0, v16, s[0:1]
	v_add_u32_e32 v14, v17, v14
	v_cmp_lt_u32_e64 s[2:3], 31, v14
	v_cndmask_b32_e64 v16, 0, v16, s[2:3]
	v_add_u32_e32 v28, v16, v14
	v_and_b32_e32 v14, 0x7fffff, v10
	v_or_b32_e32 v29, 0x800000, v14
	s_mov_b32 s4, 0xfe5163ab
	v_mad_u64_u32 v[16:17], s[4:5], v29, s4, 0
	v_mov_b32_e32 v15, 0
	v_mov_b32_e32 v14, v17
	s_mov_b32 s4, 0x3c439041
	v_mad_u64_u32 v[18:19], s[4:5], v29, s4, v[14:15]
	v_mov_b32_e32 v14, v19
	s_mov_b32 s4, 0xdb629599
	v_mad_u64_u32 v[20:21], s[4:5], v29, s4, v[14:15]
	;; [unrolled: 3-line block ×6, first 2 shown]
	v_cndmask_b32_e32 v17, v26, v22, vcc
	v_cndmask_b32_e32 v14, v14, v24, vcc
	;; [unrolled: 1-line block ×3, first 2 shown]
	v_cndmask_b32_e64 v19, v14, v17, s[0:1]
	v_cndmask_b32_e64 v14, v15, v14, s[0:1]
	v_cndmask_b32_e32 v15, v24, v20, vcc
	v_cndmask_b32_e64 v17, v17, v15, s[0:1]
	v_cndmask_b32_e32 v18, v22, v18, vcc
	v_cndmask_b32_e64 v14, v14, v19, s[2:3]
	v_cndmask_b32_e64 v19, v19, v17, s[2:3]
	v_sub_u32_e32 v21, 32, v28
	v_cndmask_b32_e64 v15, v15, v18, s[0:1]
	v_alignbit_b32 v23, v14, v19, v21
	v_cmp_eq_u32_e64 s[4:5], 0, v28
	v_cndmask_b32_e64 v17, v17, v15, s[2:3]
	v_cndmask_b32_e64 v14, v23, v14, s[4:5]
	v_alignbit_b32 v22, v19, v17, v21
	v_cndmask_b32_e64 v19, v22, v19, s[4:5]
	v_bfe_u32 v24, v14, 29, 1
	v_cndmask_b32_e32 v16, v20, v16, vcc
	v_alignbit_b32 v22, v14, v19, 30
	v_sub_u32_e32 v25, 0, v24
	v_cndmask_b32_e64 v16, v18, v16, s[0:1]
	v_xor_b32_e32 v26, v22, v25
	v_cndmask_b32_e64 v15, v15, v16, s[2:3]
	v_alignbit_b32 v16, v17, v15, v21
	v_ffbh_u32_e32 v18, v26
	v_cndmask_b32_e64 v16, v16, v17, s[4:5]
	v_add_u32_e32 v18, 1, v18
	v_cmp_ne_u32_e32 vcc, v22, v25
	v_alignbit_b32 v17, v19, v16, 30
	v_cndmask_b32_e32 v18, 33, v18, vcc
	v_alignbit_b32 v15, v16, v15, 30
	v_xor_b32_e32 v17, v17, v25
	v_sub_u32_e32 v19, 32, v18
	v_xor_b32_e32 v15, v15, v25
	v_alignbit_b32 v20, v26, v17, v19
	v_alignbit_b32 v15, v17, v15, v19
	;; [unrolled: 1-line block ×3, first 2 shown]
	v_ffbh_u32_e32 v17, v16
	v_min_u32_e32 v17, 32, v17
	v_lshrrev_b32_e32 v23, 29, v14
	v_sub_u32_e32 v19, 31, v17
	v_alignbit_b32 v15, v16, v15, v19
	v_lshlrev_b32_e32 v16, 31, v23
	v_or_b32_e32 v19, 0x33800000, v16
	v_add_lshl_u32 v17, v17, v18, 23
	v_lshrrev_b32_e32 v15, 9, v15
	v_sub_u32_e32 v17, v19, v17
	v_or_b32_e32 v15, v17, v15
	v_alignbit_b32 v17, v18, v20, 9
	v_or_b32_e32 v16, v17, v16
	v_xor_b32_e32 v16, 1.0, v16
	s_mov_b32 s0, 0x3fc90fda
	v_mul_f32_e32 v17, 0x3fc90fda, v16
	v_fma_f32 v18, v16, s0, -v17
	v_fmac_f32_e32 v18, 0x33a22168, v16
	v_fmac_f32_e32 v18, 0x3fc90fda, v15
	v_lshrrev_b32_e32 v14, 30, v14
	v_add_f32_e32 v15, v17, v18
	v_add_u32_e32 v14, v24, v14
	s_andn2_saveexec_b64 s[0:1], s[16:17]
	s_cbranch_execnz .LBB19_136
	s_branch .LBB19_137
.LBB19_135:
	s_andn2_saveexec_b64 s[0:1], s[16:17]
.LBB19_136:
	s_mov_b32 s2, 0x3f22f983
	v_mul_f32_e64 v14, |v9|, s2
	v_rndne_f32_e32 v16, v14
	s_mov_b32 s2, 0xbfc90fda
	v_cvt_i32_f32_e32 v14, v16
	v_fma_f32 v15, v16, s2, |v9|
	v_fmac_f32_e32 v15, 0xb3a22168, v16
	v_fmac_f32_e32 v15, 0xa7c234c4, v16
.LBB19_137:
	s_or_b64 exec, exec, s[0:1]
	v_div_scale_f32 v16, s[0:1], v11, v11, 1.0
	v_rcp_f32_e32 v17, v16
	v_div_scale_f32 v18, vcc, 1.0, v11, 1.0
	v_mov_b32_e32 v23, 0xbab64f3b
	v_fma_f32 v19, -v16, v17, 1.0
	v_fmac_f32_e32 v17, v19, v17
	v_mul_f32_e32 v19, v18, v17
	v_fma_f32 v20, -v16, v19, v18
	v_fmac_f32_e32 v19, v20, v17
	v_fma_f32 v16, -v16, v19, v18
	v_div_fmas_f32 v16, v16, v17, v19
	v_div_fixup_f32 v11, v16, v11, 1.0
	v_mul_f32_e32 v16, v11, v11
	v_mov_b32_e32 v17, 0xbe06db67
	v_fmac_f32_e32 v17, 0, v16
	v_mov_b32_e32 v18, 0xbf205f75
	v_fmac_f32_e32 v18, v16, v17
	;; [unrolled: 2-line block ×18, first 2 shown]
	v_mul_f32_e32 v18, v13, v13
	v_mov_b32_e32 v21, 0x3c0881c4
	v_fmac_f32_e32 v23, 0x37d75334, v18
	v_mov_b32_e32 v24, 0x3d2aabf7
	v_fmac_f32_e32 v21, 0xb94c1982, v18
	v_mov_b32_e32 v22, 0xbe2aaa9d
	v_fma_f32 v23, v18, v23, v24
	v_mov_b32_e32 v25, 0xbf000004
	v_fma_f32 v21, v18, v21, v22
	v_fma_f32 v23, v18, v23, v25
	v_mul_f32_e32 v21, v18, v21
	v_fma_f32 v18, v18, v23, 1.0
	v_and_b32_e32 v23, 1, v12
	v_lshlrev_b32_e32 v12, 30, v12
	v_fmac_f32_e32 v13, v13, v21
	v_cmp_eq_u32_e32 vcc, 0, v23
	v_and_b32_e32 v12, 0x80000000, v12
	v_xor_b32_e32 v10, v10, v9
	v_cndmask_b32_e32 v13, v18, v13, vcc
	v_xor_b32_e32 v10, v10, v12
	v_mul_f32_e32 v12, v16, v19
	v_xor_b32_e32 v10, v10, v13
	v_div_scale_f32 v13, s[0:1], v17, v17, v12
	v_rcp_f32_e32 v18, v13
	s_movk_i32 s2, 0x1f8
	v_mov_b32_e32 v19, 0x7fc00000
	v_cmp_class_f32_e64 s[0:1], v9, s2
	v_cndmask_b32_e64 v9, v19, v10, s[0:1]
	v_fma_f32 v10, -v13, v18, 1.0
	v_fmac_f32_e32 v18, v10, v18
	v_div_scale_f32 v10, vcc, v12, v17, v12
	v_mul_f32_e32 v23, v10, v18
	v_fma_f32 v26, -v13, v23, v10
	v_fmac_f32_e32 v23, v26, v18
	v_fma_f32 v10, -v13, v23, v10
	v_div_fmas_f32 v10, v10, v18, v23
	v_div_fixup_f32 v10, v10, v17, v12
	v_mov_b32_e32 v12, 0x3ca1a92f
	v_fmac_f32_e32 v12, 0, v16
	v_mov_b32_e32 v13, 0x3ec83ea8
	v_fmac_f32_e32 v13, v16, v12
	v_mov_b32_e32 v12, 0x3f886c1a
	v_fmac_f32_e32 v12, v16, v13
	v_mov_b32_e32 v13, 0x3f706d65
	v_fmac_f32_e32 v13, v16, v12
	v_mov_b32_e32 v12, 0x3eb3f34e
	v_fmac_f32_e32 v12, v16, v13
	v_mov_b32_e32 v13, 0x3d81d209
	v_fmac_f32_e32 v13, v16, v12
	v_mov_b32_e32 v12, 0x3bbff4d0
	v_fmac_f32_e32 v12, v16, v13
	v_mov_b32_e32 v13, 0x39944bb3
	v_fmac_f32_e32 v13, v16, v12
	v_mov_b32_e32 v12, 0x36ea79eb
	v_fmac_f32_e32 v12, v16, v13
	v_mov_b32_e32 v13, 0x33ae5496
	v_fmac_f32_e32 v13, v16, v12
	v_mov_b32_e32 v12, 0x2fbbc524
	v_fmac_f32_e32 v12, v16, v13
	v_mov_b32_e32 v13, 0x4114f160
	v_fmac_f32_e32 v13, 0, v16
	v_mov_b32_e32 v17, 0x419eaeae
	v_fmac_f32_e32 v17, v16, v13
	v_mov_b32_e32 v13, 0x417908dc
	v_fmac_f32_e32 v13, v16, v17
	v_mov_b32_e32 v17, 0x40af4271
	v_fmac_f32_e32 v17, v16, v13
	v_mov_b32_e32 v13, 0x3f744c96
	v_fmac_f32_e32 v13, v16, v17
	v_mov_b32_e32 v17, 0x3db110ef
	v_fmac_f32_e32 v17, v16, v13
	v_mov_b32_e32 v13, 0x3b873823
	s_mov_b32 s2, 0xf800000
	v_fmac_f32_e32 v13, v16, v17
	v_mul_f32_e32 v17, 0x4f800000, v7
	v_cmp_gt_f32_e32 vcc, s2, v7
	v_cndmask_b32_e32 v7, v7, v17, vcc
	v_sqrt_f32_e32 v17, v7
	s_mov_b32 s4, 0x3f106ebb
	v_mov_b32_e32 v18, 0x38d45b0f
	v_fmac_f32_e32 v18, v16, v13
	v_add_u32_e32 v23, -1, v17
	v_fma_f32 v26, -v23, v17, v7
	v_cmp_ge_f32_e64 s[2:3], 0, v26
	v_add_u32_e32 v26, 1, v17
	v_cndmask_b32_e64 v23, v17, v23, s[2:3]
	v_fma_f32 v17, -v26, v17, v7
	v_cmp_lt_f32_e64 s[2:3], 0, v17
	v_cndmask_b32_e64 v17, v23, v26, s[2:3]
	v_mul_f32_e32 v23, 0x37800000, v17
	v_cndmask_b32_e32 v17, v17, v23, vcc
	v_mov_b32_e32 v23, 0x260
	v_cmp_class_f32_e32 vcc, v7, v23
	v_cndmask_b32_e32 v7, v17, v7, vcc
	v_div_scale_f32 v17, s[2:3], v7, v7, s4
	v_rcp_f32_e32 v23, v17
	v_mov_b32_e32 v13, 0x359d422f
	v_fmac_f32_e32 v13, v16, v18
	v_mov_b32_e32 v18, 0x31a8fe3a
	v_fmac_f32_e32 v18, v16, v13
	v_fma_f32 v13, -v17, v23, 1.0
	v_fmac_f32_e32 v23, v13, v23
	v_div_scale_f32 v13, vcc, s4, v7, s4
	v_mul_f32_e32 v16, v13, v23
	v_fma_f32 v26, -v17, v16, v13
	v_fmac_f32_e32 v16, v26, v23
	v_fma_f32 v13, -v17, v16, v13
	v_div_fmas_f32 v13, v13, v23, v16
	v_mov_b32_e32 v20, 0x3c0881c4
	v_div_fixup_f32 v7, v13, v7, s4
	v_mul_f32_e32 v13, v15, v15
	v_mov_b32_e32 v21, 0xbab64f3b
	v_fmac_f32_e32 v20, 0xb94c1982, v13
	v_fmac_f32_e32 v22, v13, v20
	;; [unrolled: 1-line block ×3, first 2 shown]
	v_mul_f32_e32 v16, v13, v22
	v_fmac_f32_e32 v24, v13, v21
	v_fmac_f32_e32 v15, v15, v16
	;; [unrolled: 1-line block ×3, first 2 shown]
	v_and_b32_e32 v16, 1, v14
	v_mul_f32_e32 v11, v11, v12
	v_fma_f32 v13, v13, v25, 1.0
	v_cmp_eq_u32_e32 vcc, 0, v16
	v_div_scale_f32 v12, s[2:3], v18, v18, v11
	v_cndmask_b32_e64 v13, -v15, v13, vcc
	v_rcp_f32_e32 v15, v12
	v_lshlrev_b32_e32 v14, 30, v14
	v_and_b32_e32 v14, 0x80000000, v14
	v_xor_b32_e32 v13, v14, v13
	v_fma_f32 v14, -v12, v15, 1.0
	v_fmac_f32_e32 v15, v14, v15
	v_div_scale_f32 v14, vcc, v11, v18, v11
	v_mul_f32_e32 v16, v14, v15
	v_fma_f32 v17, -v12, v16, v14
	v_fmac_f32_e32 v16, v17, v15
	v_fma_f32 v12, -v12, v16, v14
	v_div_fmas_f32 v12, v12, v15, v16
	v_cndmask_b32_e64 v13, v19, v13, s[0:1]
	v_div_fixup_f32 v11, v12, v18, v11
	v_add_f32_e32 v10, 1.0, v10
	v_mul_f32_e32 v11, v11, v13
	v_fma_f32 v9, v10, v9, -v11
	v_mul_f32_e32 v7, v7, v9
.LBB19_138:
	s_or_b64 exec, exec, s[14:15]
.LBB19_139:
	s_or_b64 exec, exec, s[12:13]
.LBB19_140:
	s_or_b64 exec, exec, s[6:7]
	global_load_dword v9, v8, s[10:11]
	s_waitcnt vmcnt(0)
	v_cmp_neq_f32_e64 s[0:1], |v9|, s20
	s_and_saveexec_b64 s[6:7], s[0:1]
	s_cbranch_execz .LBB19_162
; %bb.141:
	s_mov_b32 s0, 0x42cfc8b4
	v_cmp_nlt_f32_e32 vcc, s0, v9
	v_mov_b32_e32 v5, 0
	s_and_saveexec_b64 s[10:11], vcc
	s_cbranch_execz .LBB19_161
; %bb.142:
	s_mov_b32 s0, 0xc005c28f
	v_cmp_ngt_f32_e32 vcc, s0, v9
                                        ; implicit-def: $vgpr5
	s_and_saveexec_b64 s[0:1], vcc
	s_xor_b64 s[2:3], exec, s[0:1]
	s_cbranch_execz .LBB19_150
; %bb.143:
	s_mov_b32 s0, 0x4005c28f
	v_cmp_nle_f32_e64 s[4:5], s0, v9
	v_cmp_le_f32_e32 vcc, s0, v9
	v_mov_b32_e32 v5, 0
	s_mov_b64 s[0:1], s[4:5]
	s_and_saveexec_b64 s[12:13], vcc
	s_cbranch_execz .LBB19_145
; %bb.144:
	s_mov_b32 s14, 0xf800000
	v_mul_f32_e32 v5, 0x4f800000, v9
	v_cmp_gt_f32_e32 vcc, s14, v9
	v_cndmask_b32_e32 v5, v9, v5, vcc
	v_sqrt_f32_e32 v8, v5
	v_add_f32_e32 v10, v9, v9
	s_mov_b32 s15, 0x40400000
	v_add_u32_e32 v11, -1, v8
	v_fma_f32 v12, -v11, v8, v5
	v_cmp_ge_f32_e64 s[0:1], 0, v12
	v_add_u32_e32 v12, 1, v8
	v_cndmask_b32_e64 v11, v8, v11, s[0:1]
	v_fma_f32 v8, -v12, v8, v5
	v_cmp_lt_f32_e64 s[0:1], 0, v8
	v_cndmask_b32_e64 v8, v11, v12, s[0:1]
	v_mul_f32_e32 v11, 0x37800000, v8
	v_cndmask_b32_e32 v8, v8, v11, vcc
	v_mov_b32_e32 v11, 0x260
	v_cmp_class_f32_e32 vcc, v5, v11
	v_cndmask_b32_e32 v5, v8, v5, vcc
	v_mul_f32_e32 v8, v10, v5
	v_div_scale_f32 v10, s[0:1], s15, s15, v8
	v_rcp_f32_e32 v12, v10
	v_fma_f32 v13, -v10, v12, 1.0
	v_fmac_f32_e32 v12, v13, v12
	v_div_scale_f32 v13, vcc, v8, s15, v8
	v_mul_f32_e32 v14, v13, v12
	v_fma_f32 v15, -v10, v14, v13
	v_fmac_f32_e32 v14, v15, v12
	v_fma_f32 v10, -v10, v14, v13
	v_div_fmas_f32 v10, v10, v12, v14
	v_div_fixup_f32 v8, v10, s15, v8
	v_div_scale_f32 v10, s[0:1], v8, v8, 1.0
	v_rcp_f32_e32 v12, v10
	v_fma_f32 v13, -v10, v12, 1.0
	v_fmac_f32_e32 v12, v13, v12
	v_div_scale_f32 v13, vcc, 1.0, v8, 1.0
	v_mul_f32_e32 v14, v13, v12
	v_fma_f32 v15, -v10, v14, v13
	v_fmac_f32_e32 v14, v15, v12
	v_fma_f32 v10, -v10, v14, v13
	v_div_fmas_f32 v10, v10, v12, v14
	v_div_fixup_f32 v10, v10, v8, 1.0
	v_mov_b32_e32 v12, 0x3eb16d71
	v_fmac_f32_e32 v12, 0, v10
	v_mov_b32_e32 v13, 0x41401f1c
	v_fmac_f32_e32 v13, v10, v12
	;; [unrolled: 2-line block ×14, first 2 shown]
	v_fma_f32 v13, v10, v13, 1.0
	v_fma_f32 v10, v10, v12, 1.0
	v_div_scale_f32 v12, s[0:1], v13, v13, v10
	v_rcp_f32_e32 v14, v12
	v_cmp_gt_f32_e64 s[0:1], s14, v5
	v_fma_f32 v15, -v12, v14, 1.0
	v_fmac_f32_e32 v14, v15, v14
	v_div_scale_f32 v15, vcc, v10, v13, v10
	v_mul_f32_e32 v16, v15, v14
	v_fma_f32 v17, -v12, v16, v15
	v_fmac_f32_e32 v16, v17, v14
	v_fma_f32 v12, -v12, v16, v15
	v_mul_f32_e32 v15, 0x4f800000, v5
	v_cndmask_b32_e64 v5, v5, v15, s[0:1]
	v_sqrt_f32_e32 v15, v5
	v_div_fmas_f32 v12, v12, v14, v16
	v_div_fixup_f32 v10, v12, v13, v10
	v_add_u32_e32 v12, -1, v15
	v_fma_f32 v13, -v12, v15, v5
	v_cmp_ge_f32_e32 vcc, 0, v13
	v_add_u32_e32 v13, 1, v15
	v_fma_f32 v14, -v13, v15, v5
	v_cndmask_b32_e32 v12, v15, v12, vcc
	v_cmp_lt_f32_e32 vcc, 0, v14
	v_cndmask_b32_e32 v12, v12, v13, vcc
	v_mul_f32_e32 v13, 0x37800000, v12
	v_cndmask_b32_e64 v12, v12, v13, s[0:1]
	v_cmp_class_f32_e32 vcc, v5, v11
	v_cndmask_b32_e32 v11, v12, v5, vcc
	s_mov_b32 s0, 0x3fb8aa3b
	v_mul_f32_e32 v5, 0x3fb8aa3b, v8
	v_fma_f32 v12, v8, s0, -v5
	v_rndne_f32_e32 v13, v5
	v_fmac_f32_e32 v12, 0x32a5705f, v8
	v_sub_f32_e32 v5, v5, v13
	v_add_f32_e32 v5, v5, v12
	v_exp_f32_e32 v5, v5
	v_cvt_i32_f32_e32 v12, v13
	s_mov_b32 s0, 0x3f106ebb
	s_mov_b32 s1, 2.0
	v_pk_mul_f32 v[10:11], v[10:11], s[0:1]
	s_mov_b32 s0, 0xc2ce8ed0
	v_ldexp_f32 v5, v5, v12
	v_cmp_ngt_f32_e32 vcc, s0, v8
	s_mov_b32 s0, 0x42b17218
	v_cndmask_b32_e32 v5, 0, v5, vcc
	v_mov_b32_e32 v12, 0x7f800000
	v_cmp_nlt_f32_e32 vcc, s0, v8
	v_cndmask_b32_e32 v5, v12, v5, vcc
	v_mul_f32_e32 v5, v11, v5
	v_div_scale_f32 v8, s[0:1], v5, v5, v10
	v_rcp_f32_e32 v11, v8
	s_mov_b32 s0, 0x41052018
	v_fma_f32 v12, -v8, v11, 1.0
	v_fmac_f32_e32 v11, v12, v11
	v_div_scale_f32 v12, vcc, v10, v5, v10
	v_mul_f32_e32 v13, v12, v11
	v_fma_f32 v14, -v8, v13, v12
	v_fmac_f32_e32 v13, v14, v11
	v_fma_f32 v8, -v8, v13, v12
	v_div_fmas_f32 v8, v8, v11, v13
	v_cmp_nlt_f32_e32 vcc, s0, v9
	s_andn2_b64 s[0:1], s[4:5], exec
	s_and_b64 s[14:15], vcc, exec
	v_div_fixup_f32 v5, v8, v5, v10
	s_or_b64 s[0:1], s[0:1], s[14:15]
.LBB19_145:
	s_or_b64 exec, exec, s[12:13]
	s_and_saveexec_b64 s[12:13], s[0:1]
	s_cbranch_execz .LBB19_149
; %bb.146:
	v_mul_f32_e32 v8, v9, v9
	v_mul_f32_e32 v10, v9, v8
	v_mov_b32_e32 v14, 1.0
	v_mov_b32_e32 v11, v10
	s_mov_b64 s[14:15], 0
	s_brev_b32 s16, 44
	v_mov_b32_e32 v8, v14
	v_mov_b32_e32 v12, 1.0
	v_mov_b32_e32 v13, v9
.LBB19_147:                             ; =>This Inner Loop Header: Depth=1
	v_pk_mul_f32 v[12:13], v[10:11], v[12:13]
	v_add_f32_e32 v15, 1.0, v14
	v_add_f32_e32 v16, 1.0, v15
	v_div_scale_f32 v17, s[0:1], v15, v15, v12
	v_rcp_f32_e32 v19, v17
	v_div_scale_f32 v20, s[0:1], v16, v16, v13
	v_rcp_f32_e32 v22, v20
	v_fma_f32 v23, -v17, v19, 1.0
	v_div_scale_f32 v18, vcc, v12, v15, v12
	v_fmac_f32_e32 v19, v23, v19
	v_fma_f32 v23, -v20, v22, 1.0
	v_div_scale_f32 v21, s[0:1], v13, v16, v13
	v_mul_f32_e32 v24, v18, v19
	v_fmac_f32_e32 v22, v23, v22
	v_fma_f32 v23, -v17, v24, v18
	v_mul_f32_e32 v25, v21, v22
	v_fmac_f32_e32 v24, v23, v19
	v_fma_f32 v23, -v20, v25, v21
	v_fma_f32 v17, -v17, v24, v18
	v_fmac_f32_e32 v25, v23, v22
	v_div_fmas_f32 v17, v17, v19, v24
	v_fma_f32 v18, -v20, v25, v21
	s_mov_b64 vcc, s[0:1]
	v_div_fixup_f32 v12, v17, v15, v12
	v_div_fmas_f32 v15, v18, v22, v25
	v_add_f32_e32 v14, 1.0, v16
	v_div_fixup_f32 v13, v15, v16, v13
	v_div_scale_f32 v15, s[0:1], v16, v16, v12
	v_div_scale_f32 v18, s[18:19], v14, v14, v13
	v_rcp_f32_e32 v20, v15
	v_rcp_f32_e32 v21, v18
	v_div_scale_f32 v17, s[0:1], v12, v16, v12
	v_fma_f32 v22, -v15, v20, 1.0
	v_fma_f32 v23, -v18, v21, 1.0
	v_div_scale_f32 v19, vcc, v13, v14, v13
	v_fmac_f32_e32 v20, v22, v20
	v_fmac_f32_e32 v21, v23, v21
	v_mul_f32_e32 v22, v17, v20
	v_mul_f32_e32 v23, v19, v21
	v_fma_f32 v24, -v15, v22, v17
	v_fma_f32 v25, -v18, v23, v19
	v_fmac_f32_e32 v22, v24, v20
	v_fmac_f32_e32 v23, v25, v21
	v_fma_f32 v15, -v15, v22, v17
	v_fma_f32 v17, -v18, v23, v19
	v_div_fmas_f32 v17, v17, v21, v23
	s_mov_b64 vcc, s[0:1]
	v_div_fmas_f32 v15, v15, v20, v22
	v_div_fixup_f32 v13, v17, v14, v13
	v_div_fixup_f32 v12, v15, v16, v12
	v_pk_add_f32 v[8:9], v[8:9], v[12:13]
	v_div_scale_f32 v15, s[0:1], v8, v8, v12
	v_rcp_f32_e32 v16, v15
	v_div_scale_f32 v17, vcc, v12, v8, v12
	v_fma_f32 v18, -v15, v16, 1.0
	v_fmac_f32_e32 v16, v18, v16
	v_mul_f32_e32 v18, v17, v16
	v_fma_f32 v19, -v15, v18, v17
	v_fmac_f32_e32 v18, v19, v16
	v_fma_f32 v15, -v15, v18, v17
	v_div_fmas_f32 v15, v15, v16, v18
	v_div_fixup_f32 v15, v15, v8, v12
	v_cmp_ngt_f32_e64 s[0:1], |v15|, s16
	s_or_b64 s[14:15], s[0:1], s[14:15]
	s_andn2_b64 exec, exec, s[14:15]
	s_cbranch_execnz .LBB19_147
; %bb.148:
	s_or_b64 exec, exec, s[14:15]
	s_mov_b32 s0, 0x3eb5c63d
	s_mov_b32 s1, 0x3e8483fa
	v_pk_mul_f32 v[8:9], v[8:9], s[0:1]
	v_sub_f32_e32 v8, v8, v9
	v_cndmask_b32_e64 v5, v5, v8, s[4:5]
.LBB19_149:
	s_or_b64 exec, exec, s[12:13]
                                        ; implicit-def: $vgpr9
.LBB19_150:
	s_andn2_saveexec_b64 s[12:13], s[2:3]
	s_cbranch_execz .LBB19_160
; %bb.151:
	s_mov_b32 s0, 0x8f800000
	v_mul_f32_e32 v5, 0xcf800000, v9
	v_cmp_lt_f32_e32 vcc, s0, v9
	v_cndmask_b32_e64 v5, -v9, v5, vcc
	v_sqrt_f32_e32 v8, v5
	v_mul_f32_e32 v9, -2.0, v9
	s_mov_b32 s2, 0x40400000
	v_add_u32_e32 v10, -1, v8
	v_fma_f32 v11, -v10, v8, v5
	v_cmp_ge_f32_e64 s[0:1], 0, v11
	v_add_u32_e32 v11, 1, v8
	v_cndmask_b32_e64 v10, v8, v10, s[0:1]
	v_fma_f32 v8, -v11, v8, v5
	v_cmp_lt_f32_e64 s[0:1], 0, v8
	v_cndmask_b32_e64 v8, v10, v11, s[0:1]
	v_mul_f32_e32 v10, 0x37800000, v8
	v_cndmask_b32_e32 v8, v8, v10, vcc
	v_mov_b32_e32 v10, 0x260
	v_cmp_class_f32_e32 vcc, v5, v10
	v_cndmask_b32_e32 v5, v8, v5, vcc
	v_mul_f32_e32 v8, v9, v5
	v_div_scale_f32 v9, s[0:1], s2, s2, v8
	v_rcp_f32_e32 v10, v9
	s_brev_b32 s0, 18
	v_fma_f32 v11, -v9, v10, 1.0
	v_fmac_f32_e32 v10, v11, v10
	v_div_scale_f32 v11, vcc, v8, s2, v8
	v_mul_f32_e32 v12, v11, v10
	v_fma_f32 v13, -v9, v12, v11
	v_fmac_f32_e32 v12, v13, v10
	v_fma_f32 v9, -v9, v12, v11
	v_div_fmas_f32 v9, v9, v10, v12
	v_div_fixup_f32 v10, v9, s2, v8
	v_add_f32_e32 v8, 0x3f490fdb, v10
	v_and_b32_e32 v9, 0x7fffffff, v8
	v_cmp_nlt_f32_e64 s[14:15], |v8|, s0
                                        ; implicit-def: $vgpr11
                                        ; implicit-def: $vgpr12
	s_and_saveexec_b64 s[0:1], s[14:15]
	s_xor_b64 s[16:17], exec, s[0:1]
	s_cbranch_execz .LBB19_153
; %bb.152:
	v_lshrrev_b32_e32 v11, 23, v9
	v_add_u32_e32 v11, 0xffffff88, v11
	v_not_b32_e32 v12, 63
	v_cmp_lt_u32_e32 vcc, 63, v11
	v_cndmask_b32_e32 v12, 0, v12, vcc
	v_add_u32_e32 v11, v12, v11
	v_not_b32_e32 v12, 31
	v_cmp_lt_u32_e64 s[0:1], 31, v11
	v_cndmask_b32_e64 v14, 0, v12, s[0:1]
	v_add_u32_e32 v11, v14, v11
	v_cmp_lt_u32_e64 s[2:3], 31, v11
	v_cndmask_b32_e64 v12, 0, v12, s[2:3]
	v_add_u32_e32 v11, v12, v11
	v_and_b32_e32 v12, 0x7fffff, v9
	v_or_b32_e32 v26, 0x800000, v12
	s_mov_b32 s4, 0xfe5163ab
	v_mad_u64_u32 v[14:15], s[4:5], v26, s4, 0
	v_mov_b32_e32 v13, 0
	v_mov_b32_e32 v12, v15
	s_mov_b32 s4, 0x3c439041
	v_mad_u64_u32 v[16:17], s[4:5], v26, s4, v[12:13]
	v_mov_b32_e32 v12, v17
	s_mov_b32 s4, 0xdb629599
	v_mad_u64_u32 v[18:19], s[4:5], v26, s4, v[12:13]
	;; [unrolled: 3-line block ×6, first 2 shown]
	v_cndmask_b32_e32 v15, v24, v20, vcc
	v_cndmask_b32_e32 v12, v12, v22, vcc
	;; [unrolled: 1-line block ×3, first 2 shown]
	v_cndmask_b32_e64 v17, v12, v15, s[0:1]
	v_cndmask_b32_e64 v12, v13, v12, s[0:1]
	v_cndmask_b32_e32 v13, v22, v18, vcc
	v_cndmask_b32_e64 v15, v15, v13, s[0:1]
	v_cndmask_b32_e64 v12, v12, v17, s[2:3]
	;; [unrolled: 1-line block ×3, first 2 shown]
	v_sub_u32_e32 v19, 32, v11
	v_alignbit_b32 v21, v12, v17, v19
	v_cmp_eq_u32_e64 s[4:5], 0, v11
	v_cndmask_b32_e64 v11, v21, v12, s[4:5]
	v_cndmask_b32_e32 v12, v20, v16, vcc
	v_cndmask_b32_e64 v13, v13, v12, s[0:1]
	v_cndmask_b32_e64 v15, v15, v13, s[2:3]
	v_alignbit_b32 v16, v17, v15, v19
	v_cndmask_b32_e32 v14, v18, v14, vcc
	v_cndmask_b32_e64 v16, v16, v17, s[4:5]
	v_bfe_u32 v21, v11, 29, 1
	v_cndmask_b32_e64 v12, v12, v14, s[0:1]
	v_alignbit_b32 v17, v11, v16, 30
	v_sub_u32_e32 v22, 0, v21
	v_cndmask_b32_e64 v12, v13, v12, s[2:3]
	v_xor_b32_e32 v23, v17, v22
	v_alignbit_b32 v13, v15, v12, v19
	v_cndmask_b32_e64 v13, v13, v15, s[4:5]
	v_ffbh_u32_e32 v15, v23
	v_add_u32_e32 v15, 1, v15
	v_cmp_ne_u32_e32 vcc, v17, v22
	v_alignbit_b32 v14, v16, v13, 30
	v_cndmask_b32_e32 v15, 33, v15, vcc
	v_alignbit_b32 v12, v13, v12, 30
	v_xor_b32_e32 v14, v14, v22
	v_sub_u32_e32 v16, 32, v15
	v_xor_b32_e32 v12, v12, v22
	v_alignbit_b32 v17, v23, v14, v16
	v_alignbit_b32 v12, v14, v12, v16
	;; [unrolled: 1-line block ×3, first 2 shown]
	v_ffbh_u32_e32 v14, v13
	v_min_u32_e32 v14, 32, v14
	v_lshrrev_b32_e32 v20, 29, v11
	v_sub_u32_e32 v16, 31, v14
	v_alignbit_b32 v12, v13, v12, v16
	v_lshlrev_b32_e32 v13, 31, v20
	v_or_b32_e32 v16, 0x33800000, v13
	v_add_lshl_u32 v14, v14, v15, 23
	v_lshrrev_b32_e32 v12, 9, v12
	v_sub_u32_e32 v14, v16, v14
	v_or_b32_e32 v12, v14, v12
	v_alignbit_b32 v14, v15, v17, 9
	v_or_b32_e32 v13, v14, v13
	v_xor_b32_e32 v13, 1.0, v13
	s_mov_b32 s0, 0x3fc90fda
	v_mul_f32_e32 v14, 0x3fc90fda, v13
	v_fma_f32 v15, v13, s0, -v14
	v_fmac_f32_e32 v15, 0x33a22168, v13
	v_fmac_f32_e32 v15, 0x3fc90fda, v12
	v_lshrrev_b32_e32 v11, 30, v11
	v_add_f32_e32 v12, v14, v15
	v_add_u32_e32 v11, v21, v11
	s_andn2_saveexec_b64 s[0:1], s[16:17]
	s_branch .LBB19_154
.LBB19_153:
	s_andn2_saveexec_b64 s[0:1], s[16:17]
.LBB19_154:
	s_mov_b32 s2, 0x3f22f983
	v_mul_f32_e64 v11, |v8|, s2
	v_rndne_f32_e32 v13, v11
	s_mov_b32 s2, 0xbfc90fda
	v_cvt_i32_f32_e32 v11, v13
	v_fma_f32 v12, v13, s2, |v8|
	v_fmac_f32_e32 v12, 0xb3a22168, v13
	v_fmac_f32_e32 v12, 0xa7c234c4, v13
; %bb.155:
	s_or_b64 exec, exec, s[0:1]
                                        ; implicit-def: $vgpr13
                                        ; implicit-def: $vgpr14
	s_and_saveexec_b64 s[0:1], s[14:15]
	s_xor_b64 s[14:15], exec, s[0:1]
	s_cbranch_execz .LBB19_157
; %bb.156:
	v_lshrrev_b32_e32 v13, 23, v9
	v_add_u32_e32 v13, 0xffffff88, v13
	v_not_b32_e32 v14, 63
	v_cmp_lt_u32_e32 vcc, 63, v13
	v_cndmask_b32_e32 v14, 0, v14, vcc
	v_add_u32_e32 v13, v14, v13
	v_not_b32_e32 v14, 31
	v_cmp_lt_u32_e64 s[0:1], 31, v13
	v_cndmask_b32_e64 v16, 0, v14, s[0:1]
	v_add_u32_e32 v13, v16, v13
	v_cmp_lt_u32_e64 s[2:3], 31, v13
	v_cndmask_b32_e64 v14, 0, v14, s[2:3]
	v_add_u32_e32 v13, v14, v13
	v_and_b32_e32 v14, 0x7fffff, v9
	v_or_b32_e32 v28, 0x800000, v14
	s_mov_b32 s4, 0xfe5163ab
	v_mad_u64_u32 v[16:17], s[4:5], v28, s4, 0
	v_mov_b32_e32 v15, 0
	v_mov_b32_e32 v14, v17
	s_mov_b32 s4, 0x3c439041
	v_mad_u64_u32 v[18:19], s[4:5], v28, s4, v[14:15]
	v_mov_b32_e32 v14, v19
	s_mov_b32 s4, 0xdb629599
	v_mad_u64_u32 v[20:21], s[4:5], v28, s4, v[14:15]
	;; [unrolled: 3-line block ×6, first 2 shown]
	v_cndmask_b32_e32 v17, v26, v22, vcc
	v_cndmask_b32_e32 v14, v14, v24, vcc
	;; [unrolled: 1-line block ×3, first 2 shown]
	v_cndmask_b32_e64 v19, v14, v17, s[0:1]
	v_cndmask_b32_e64 v14, v15, v14, s[0:1]
	v_cndmask_b32_e32 v15, v24, v20, vcc
	v_cndmask_b32_e64 v17, v17, v15, s[0:1]
	v_cndmask_b32_e64 v14, v14, v19, s[2:3]
	v_cndmask_b32_e64 v19, v19, v17, s[2:3]
	v_sub_u32_e32 v21, 32, v13
	v_alignbit_b32 v23, v14, v19, v21
	v_cmp_eq_u32_e64 s[4:5], 0, v13
	v_cndmask_b32_e64 v13, v23, v14, s[4:5]
	v_cndmask_b32_e32 v14, v22, v18, vcc
	v_cndmask_b32_e64 v15, v15, v14, s[0:1]
	v_cndmask_b32_e64 v17, v17, v15, s[2:3]
	v_alignbit_b32 v18, v19, v17, v21
	v_cndmask_b32_e32 v16, v20, v16, vcc
	v_cndmask_b32_e64 v18, v18, v19, s[4:5]
	v_bfe_u32 v23, v13, 29, 1
	v_cndmask_b32_e64 v14, v14, v16, s[0:1]
	v_alignbit_b32 v19, v13, v18, 30
	v_sub_u32_e32 v24, 0, v23
	v_cndmask_b32_e64 v14, v15, v14, s[2:3]
	v_xor_b32_e32 v25, v19, v24
	v_alignbit_b32 v15, v17, v14, v21
	v_cndmask_b32_e64 v15, v15, v17, s[4:5]
	v_ffbh_u32_e32 v17, v25
	v_add_u32_e32 v17, 1, v17
	v_cmp_ne_u32_e32 vcc, v19, v24
	v_alignbit_b32 v16, v18, v15, 30
	v_cndmask_b32_e32 v17, 33, v17, vcc
	v_alignbit_b32 v14, v15, v14, 30
	v_xor_b32_e32 v16, v16, v24
	v_sub_u32_e32 v18, 32, v17
	v_xor_b32_e32 v14, v14, v24
	v_alignbit_b32 v19, v25, v16, v18
	v_alignbit_b32 v14, v16, v14, v18
	v_alignbit_b32 v15, v19, v14, 9
	v_ffbh_u32_e32 v16, v15
	v_min_u32_e32 v16, 32, v16
	v_lshrrev_b32_e32 v22, 29, v13
	v_sub_u32_e32 v18, 31, v16
	v_alignbit_b32 v14, v15, v14, v18
	v_lshlrev_b32_e32 v15, 31, v22
	v_or_b32_e32 v18, 0x33800000, v15
	v_add_lshl_u32 v16, v16, v17, 23
	v_lshrrev_b32_e32 v14, 9, v14
	v_sub_u32_e32 v16, v18, v16
	v_or_b32_e32 v14, v16, v14
	v_alignbit_b32 v16, v17, v19, 9
	v_or_b32_e32 v15, v16, v15
	v_xor_b32_e32 v15, 1.0, v15
	s_mov_b32 s0, 0x3fc90fda
	v_mul_f32_e32 v16, 0x3fc90fda, v15
	v_fma_f32 v17, v15, s0, -v16
	v_fmac_f32_e32 v17, 0x33a22168, v15
	v_fmac_f32_e32 v17, 0x3fc90fda, v14
	v_lshrrev_b32_e32 v13, 30, v13
	v_add_f32_e32 v14, v16, v17
	v_add_u32_e32 v13, v23, v13
	s_andn2_saveexec_b64 s[0:1], s[14:15]
	s_cbranch_execnz .LBB19_158
	s_branch .LBB19_159
.LBB19_157:
	s_andn2_saveexec_b64 s[0:1], s[14:15]
.LBB19_158:
	s_mov_b32 s2, 0x3f22f983
	v_mul_f32_e64 v13, |v8|, s2
	v_rndne_f32_e32 v15, v13
	s_mov_b32 s2, 0xbfc90fda
	v_cvt_i32_f32_e32 v13, v15
	v_fma_f32 v14, v15, s2, |v8|
	v_fmac_f32_e32 v14, 0xb3a22168, v15
	v_fmac_f32_e32 v14, 0xa7c234c4, v15
.LBB19_159:
	s_or_b64 exec, exec, s[0:1]
	v_div_scale_f32 v15, s[0:1], v10, v10, 1.0
	v_rcp_f32_e32 v16, v15
	v_div_scale_f32 v17, vcc, 1.0, v10, 1.0
	v_mov_b32_e32 v22, 0xbab64f3b
	v_fma_f32 v18, -v15, v16, 1.0
	v_fmac_f32_e32 v16, v18, v16
	v_mul_f32_e32 v18, v17, v16
	v_fma_f32 v19, -v15, v18, v17
	v_fmac_f32_e32 v18, v19, v16
	v_fma_f32 v15, -v15, v18, v17
	v_div_fmas_f32 v15, v15, v16, v18
	v_div_fixup_f32 v10, v15, v10, 1.0
	v_mul_f32_e32 v15, v10, v10
	v_mov_b32_e32 v16, 0xbe06db67
	v_fmac_f32_e32 v16, 0, v15
	v_mov_b32_e32 v17, 0xbf205f75
	v_fmac_f32_e32 v17, v15, v16
	;; [unrolled: 2-line block ×18, first 2 shown]
	v_mul_f32_e32 v17, v12, v12
	v_mov_b32_e32 v20, 0x3c0881c4
	v_fmac_f32_e32 v22, 0x37d75334, v17
	v_mov_b32_e32 v23, 0x3d2aabf7
	v_fmac_f32_e32 v20, 0xb94c1982, v17
	v_mov_b32_e32 v21, 0xbe2aaa9d
	v_fma_f32 v22, v17, v22, v23
	v_mov_b32_e32 v24, 0xbf000004
	v_fma_f32 v20, v17, v20, v21
	v_fma_f32 v22, v17, v22, v24
	v_mul_f32_e32 v20, v17, v20
	v_fma_f32 v17, v17, v22, 1.0
	v_and_b32_e32 v22, 1, v11
	v_lshlrev_b32_e32 v11, 30, v11
	v_fmac_f32_e32 v12, v12, v20
	v_cmp_eq_u32_e32 vcc, 0, v22
	v_and_b32_e32 v11, 0x80000000, v11
	v_xor_b32_e32 v9, v9, v8
	v_cndmask_b32_e32 v12, v17, v12, vcc
	v_xor_b32_e32 v9, v9, v11
	v_mul_f32_e32 v11, v15, v18
	v_xor_b32_e32 v9, v9, v12
	v_div_scale_f32 v12, s[0:1], v16, v16, v11
	v_rcp_f32_e32 v17, v12
	s_movk_i32 s2, 0x1f8
	v_mov_b32_e32 v18, 0x7fc00000
	v_cmp_class_f32_e64 s[0:1], v8, s2
	v_cndmask_b32_e64 v8, v18, v9, s[0:1]
	v_fma_f32 v9, -v12, v17, 1.0
	v_fmac_f32_e32 v17, v9, v17
	v_div_scale_f32 v9, vcc, v11, v16, v11
	v_mul_f32_e32 v22, v9, v17
	v_fma_f32 v25, -v12, v22, v9
	v_fmac_f32_e32 v22, v25, v17
	v_fma_f32 v9, -v12, v22, v9
	v_div_fmas_f32 v9, v9, v17, v22
	v_div_fixup_f32 v9, v9, v16, v11
	v_mov_b32_e32 v11, 0x3ca1a92f
	v_fmac_f32_e32 v11, 0, v15
	v_mov_b32_e32 v12, 0x3ec83ea8
	v_fmac_f32_e32 v12, v15, v11
	;; [unrolled: 2-line block ×17, first 2 shown]
	v_mov_b32_e32 v12, 0x3b873823
	s_mov_b32 s2, 0xf800000
	v_fmac_f32_e32 v12, v15, v16
	v_mul_f32_e32 v16, 0x4f800000, v5
	v_cmp_gt_f32_e32 vcc, s2, v5
	v_cndmask_b32_e32 v5, v5, v16, vcc
	v_sqrt_f32_e32 v16, v5
	s_mov_b32 s4, 0x3f106ebb
	v_mov_b32_e32 v17, 0x38d45b0f
	v_fmac_f32_e32 v17, v15, v12
	v_add_u32_e32 v22, -1, v16
	v_fma_f32 v25, -v22, v16, v5
	v_cmp_ge_f32_e64 s[2:3], 0, v25
	v_add_u32_e32 v25, 1, v16
	v_cndmask_b32_e64 v22, v16, v22, s[2:3]
	v_fma_f32 v16, -v25, v16, v5
	v_cmp_lt_f32_e64 s[2:3], 0, v16
	v_cndmask_b32_e64 v16, v22, v25, s[2:3]
	v_mul_f32_e32 v22, 0x37800000, v16
	v_cndmask_b32_e32 v16, v16, v22, vcc
	v_mov_b32_e32 v22, 0x260
	v_cmp_class_f32_e32 vcc, v5, v22
	v_cndmask_b32_e32 v5, v16, v5, vcc
	v_div_scale_f32 v16, s[2:3], v5, v5, s4
	v_rcp_f32_e32 v22, v16
	v_mov_b32_e32 v12, 0x359d422f
	v_fmac_f32_e32 v12, v15, v17
	v_mov_b32_e32 v17, 0x31a8fe3a
	v_fmac_f32_e32 v17, v15, v12
	v_fma_f32 v12, -v16, v22, 1.0
	v_fmac_f32_e32 v22, v12, v22
	v_div_scale_f32 v12, vcc, s4, v5, s4
	v_mul_f32_e32 v15, v12, v22
	v_fma_f32 v25, -v16, v15, v12
	v_fmac_f32_e32 v15, v25, v22
	v_fma_f32 v12, -v16, v15, v12
	v_div_fmas_f32 v12, v12, v22, v15
	v_mov_b32_e32 v19, 0x3c0881c4
	v_div_fixup_f32 v5, v12, v5, s4
	v_mul_f32_e32 v12, v14, v14
	v_mov_b32_e32 v20, 0xbab64f3b
	v_fmac_f32_e32 v19, 0xb94c1982, v12
	v_fmac_f32_e32 v21, v12, v19
	;; [unrolled: 1-line block ×3, first 2 shown]
	v_mul_f32_e32 v15, v12, v21
	v_fmac_f32_e32 v23, v12, v20
	v_fmac_f32_e32 v14, v14, v15
	;; [unrolled: 1-line block ×3, first 2 shown]
	v_and_b32_e32 v15, 1, v13
	v_mul_f32_e32 v10, v10, v11
	v_fma_f32 v12, v12, v24, 1.0
	v_cmp_eq_u32_e32 vcc, 0, v15
	v_div_scale_f32 v11, s[2:3], v17, v17, v10
	v_cndmask_b32_e64 v12, -v14, v12, vcc
	v_rcp_f32_e32 v14, v11
	v_lshlrev_b32_e32 v13, 30, v13
	v_and_b32_e32 v13, 0x80000000, v13
	v_xor_b32_e32 v12, v13, v12
	v_fma_f32 v13, -v11, v14, 1.0
	v_fmac_f32_e32 v14, v13, v14
	v_div_scale_f32 v13, vcc, v10, v17, v10
	v_mul_f32_e32 v15, v13, v14
	v_fma_f32 v16, -v11, v15, v13
	v_fmac_f32_e32 v15, v16, v14
	v_fma_f32 v11, -v11, v15, v13
	v_div_fmas_f32 v11, v11, v14, v15
	v_cndmask_b32_e64 v12, v18, v12, s[0:1]
	v_div_fixup_f32 v10, v11, v17, v10
	v_add_f32_e32 v9, 1.0, v9
	v_mul_f32_e32 v10, v10, v12
	v_fma_f32 v8, v9, v8, -v10
	v_mul_f32_e32 v5, v5, v8
.LBB19_160:
	s_or_b64 exec, exec, s[12:13]
.LBB19_161:
	s_or_b64 exec, exec, s[10:11]
.LBB19_162:
	s_or_b64 exec, exec, s[6:7]
	global_store_dword v0, v3, s[8:9]
	global_store_dword v2, v1, s[8:9]
	;; [unrolled: 1-line block ×4, first 2 shown]
	s_endpgm
.LBB19_163:
	s_mov_b32 s7, s6
	v_pk_mov_b32 v[0:1], s[6:7], s[6:7] op_sel:[0,1]
                                        ; implicit-def: $vgpr2
	v_mov_b32_e32 v3, v8
.LBB19_164:
	s_and_b32 s7, s59, 3
	s_cmp_eq_u32 s7, 0
	s_cbranch_scc1 .LBB19_168
; %bb.165:
	s_lshl_b32 s0, s6, 3
	s_add_u32 s0, s0, s4
	s_addc_u32 s1, s5, 0
	s_add_u32 s0, s0, 0xc4
	s_addc_u32 s1, s1, 0
	s_mul_i32 s2, s6, 12
	s_add_u32 s2, s4, s2
	s_addc_u32 s3, s5, 0
.LBB19_166:                             ; =>This Inner Loop Header: Depth=1
	s_load_dwordx2 s[8:9], s[2:3], 0x4
	s_load_dword s6, s[2:3], 0xc
	s_load_dwordx2 s[10:11], s[0:1], 0x0
	v_mov_b32_e32 v2, v1
	s_add_u32 s2, s2, 12
	s_waitcnt lgkmcnt(0)
	v_mul_hi_u32 v1, s9, v3
	v_add_u32_e32 v1, v3, v1
	v_lshrrev_b32_e32 v1, s6, v1
	s_addc_u32 s3, s3, 0
	v_mul_lo_u32 v4, v1, s8
	s_add_u32 s0, s0, 8
	v_sub_u32_e32 v6, v3, v4
	v_mov_b32_e32 v3, v1
	s_addc_u32 s1, s1, 0
	s_add_i32 s7, s7, -1
	v_mad_u64_u32 v[4:5], s[8:9], v6, s11, v[2:3]
	v_mad_u64_u32 v[0:1], s[8:9], v6, s10, v[0:1]
	s_cmp_lg_u32 s7, 0
	v_mov_b32_e32 v1, v4
	s_cbranch_scc1 .LBB19_166
; %bb.167:
	v_mov_b32_e32 v2, v1
.LBB19_168:
	s_cbranch_execnz .LBB19_171
.LBB19_169:
	s_waitcnt lgkmcnt(0)
	v_mul_hi_u32 v0, s37, v8
	v_add_u32_e32 v0, v8, v0
	v_lshrrev_b32_e32 v1, s38, v0
	v_mul_lo_u32 v0, v1, s36
	v_sub_u32_e32 v0, v8, v0
	v_mul_lo_u32 v2, v0, s29
	s_andn2_b64 vcc, exec, s[44:45]
	v_mul_lo_u32 v0, v0, s28
	s_cbranch_vccnz .LBB19_171
; %bb.170:
	v_mul_hi_u32 v3, s42, v1
	v_add_u32_e32 v3, v1, v3
	v_lshrrev_b32_e32 v3, s43, v3
	v_mul_lo_u32 v3, v3, s39
	v_sub_u32_e32 v3, v1, v3
	v_mad_u64_u32 v[0:1], s[0:1], v3, s30, v[0:1]
	v_mad_u64_u32 v[2:3], s[0:1], v3, s31, v[2:3]
.LBB19_171:
	s_waitcnt lgkmcnt(0)
	global_load_dword v3, v2, s[26:27]
	s_mov_b32 s0, 0x7f800000
	v_mov_b32_e32 v1, 0x7fc00000
	s_waitcnt vmcnt(0)
	v_cmp_neq_f32_e64 s[0:1], |v3|, s0
	s_and_saveexec_b64 s[8:9], s[0:1]
	s_cbranch_execz .LBB19_218
; %bb.172:
	s_mov_b32 s0, 0x42cfc8b4
	v_cmp_nlt_f32_e32 vcc, s0, v3
	v_mov_b32_e32 v1, 0
	s_and_saveexec_b64 s[10:11], vcc
	s_cbranch_execz .LBB19_217
; %bb.173:
	s_mov_b32 s0, 0xc005c28f
	v_cmp_ngt_f32_e32 vcc, s0, v3
                                        ; implicit-def: $vgpr1
	s_and_saveexec_b64 s[0:1], vcc
	s_xor_b64 s[2:3], exec, s[0:1]
	s_cbranch_execz .LBB19_181
; %bb.174:
	s_mov_b32 s0, 0x4005c28f
	v_cmp_nle_f32_e64 s[6:7], s0, v3
	v_cmp_le_f32_e32 vcc, s0, v3
	v_mov_b32_e32 v1, 0
	s_mov_b64 s[0:1], s[6:7]
	s_and_saveexec_b64 s[12:13], vcc
	s_cbranch_execz .LBB19_176
; %bb.175:
	s_mov_b32 s14, 0xf800000
	v_mul_f32_e32 v1, 0x4f800000, v3
	v_cmp_gt_f32_e32 vcc, s14, v3
	v_cndmask_b32_e32 v1, v3, v1, vcc
	v_sqrt_f32_e32 v2, v1
	v_add_f32_e32 v4, v3, v3
	s_mov_b32 s15, 0x40400000
	v_add_u32_e32 v5, -1, v2
	v_fma_f32 v6, -v5, v2, v1
	v_cmp_ge_f32_e64 s[0:1], 0, v6
	v_add_u32_e32 v6, 1, v2
	v_cndmask_b32_e64 v5, v2, v5, s[0:1]
	v_fma_f32 v2, -v6, v2, v1
	v_cmp_lt_f32_e64 s[0:1], 0, v2
	v_cndmask_b32_e64 v2, v5, v6, s[0:1]
	v_mul_f32_e32 v5, 0x37800000, v2
	v_cndmask_b32_e32 v2, v2, v5, vcc
	v_mov_b32_e32 v5, 0x260
	v_cmp_class_f32_e32 vcc, v1, v5
	v_cndmask_b32_e32 v1, v2, v1, vcc
	v_mul_f32_e32 v2, v4, v1
	v_div_scale_f32 v4, s[0:1], s15, s15, v2
	v_rcp_f32_e32 v6, v4
	v_fma_f32 v7, -v4, v6, 1.0
	v_fmac_f32_e32 v6, v7, v6
	v_div_scale_f32 v7, vcc, v2, s15, v2
	v_mul_f32_e32 v9, v7, v6
	v_fma_f32 v10, -v4, v9, v7
	v_fmac_f32_e32 v9, v10, v6
	v_fma_f32 v4, -v4, v9, v7
	v_div_fmas_f32 v4, v4, v6, v9
	v_div_fixup_f32 v2, v4, s15, v2
	v_div_scale_f32 v4, s[0:1], v2, v2, 1.0
	v_rcp_f32_e32 v6, v4
	v_fma_f32 v7, -v4, v6, 1.0
	v_fmac_f32_e32 v6, v7, v6
	v_div_scale_f32 v7, vcc, 1.0, v2, 1.0
	v_mul_f32_e32 v9, v7, v6
	v_fma_f32 v10, -v4, v9, v7
	v_fmac_f32_e32 v9, v10, v6
	v_fma_f32 v4, -v4, v9, v7
	v_div_fmas_f32 v4, v4, v6, v9
	v_div_fixup_f32 v4, v4, v2, 1.0
	v_mov_b32_e32 v6, 0x3eb16d71
	v_fmac_f32_e32 v6, 0, v4
	v_mov_b32_e32 v7, 0x41401f1c
	v_fmac_f32_e32 v7, v4, v6
	;; [unrolled: 2-line block ×14, first 2 shown]
	v_fma_f32 v7, v4, v7, 1.0
	v_fma_f32 v4, v4, v6, 1.0
	v_div_scale_f32 v6, s[0:1], v7, v7, v4
	v_rcp_f32_e32 v9, v6
	v_cmp_gt_f32_e64 s[0:1], s14, v1
	v_fma_f32 v10, -v6, v9, 1.0
	v_fmac_f32_e32 v9, v10, v9
	v_div_scale_f32 v10, vcc, v4, v7, v4
	v_mul_f32_e32 v11, v10, v9
	v_fma_f32 v12, -v6, v11, v10
	v_fmac_f32_e32 v11, v12, v9
	v_fma_f32 v6, -v6, v11, v10
	v_mul_f32_e32 v10, 0x4f800000, v1
	v_cndmask_b32_e64 v1, v1, v10, s[0:1]
	v_sqrt_f32_e32 v10, v1
	v_div_fmas_f32 v6, v6, v9, v11
	v_div_fixup_f32 v4, v6, v7, v4
	v_add_u32_e32 v6, -1, v10
	v_fma_f32 v7, -v6, v10, v1
	v_cmp_ge_f32_e32 vcc, 0, v7
	v_add_u32_e32 v7, 1, v10
	v_fma_f32 v9, -v7, v10, v1
	v_cndmask_b32_e32 v6, v10, v6, vcc
	v_cmp_lt_f32_e32 vcc, 0, v9
	v_cndmask_b32_e32 v6, v6, v7, vcc
	v_mul_f32_e32 v7, 0x37800000, v6
	v_cndmask_b32_e64 v6, v6, v7, s[0:1]
	v_cmp_class_f32_e32 vcc, v1, v5
	v_cndmask_b32_e32 v5, v6, v1, vcc
	s_mov_b32 s0, 0x3fb8aa3b
	v_mul_f32_e32 v1, 0x3fb8aa3b, v2
	v_fma_f32 v6, v2, s0, -v1
	v_rndne_f32_e32 v7, v1
	v_fmac_f32_e32 v6, 0x32a5705f, v2
	v_sub_f32_e32 v1, v1, v7
	v_add_f32_e32 v1, v1, v6
	v_exp_f32_e32 v1, v1
	v_cvt_i32_f32_e32 v6, v7
	s_mov_b32 s0, 0x3f106ebb
	s_mov_b32 s1, 2.0
	v_pk_mul_f32 v[4:5], v[4:5], s[0:1]
	s_mov_b32 s0, 0xc2ce8ed0
	v_ldexp_f32 v1, v1, v6
	v_cmp_ngt_f32_e32 vcc, s0, v2
	s_mov_b32 s0, 0x42b17218
	v_cndmask_b32_e32 v1, 0, v1, vcc
	v_mov_b32_e32 v6, 0x7f800000
	v_cmp_nlt_f32_e32 vcc, s0, v2
	v_cndmask_b32_e32 v1, v6, v1, vcc
	v_mul_f32_e32 v1, v5, v1
	v_div_scale_f32 v2, s[0:1], v1, v1, v4
	v_rcp_f32_e32 v5, v2
	s_mov_b32 s0, 0x41052018
	v_fma_f32 v6, -v2, v5, 1.0
	v_fmac_f32_e32 v5, v6, v5
	v_div_scale_f32 v6, vcc, v4, v1, v4
	v_mul_f32_e32 v7, v6, v5
	v_fma_f32 v9, -v2, v7, v6
	v_fmac_f32_e32 v7, v9, v5
	v_fma_f32 v2, -v2, v7, v6
	v_div_fmas_f32 v2, v2, v5, v7
	v_cmp_nlt_f32_e32 vcc, s0, v3
	s_andn2_b64 s[0:1], s[6:7], exec
	s_and_b64 s[14:15], vcc, exec
	v_div_fixup_f32 v1, v2, v1, v4
	s_or_b64 s[0:1], s[0:1], s[14:15]
.LBB19_176:
	s_or_b64 exec, exec, s[12:13]
	s_and_saveexec_b64 s[12:13], s[0:1]
	s_cbranch_execz .LBB19_180
; %bb.177:
	v_mul_f32_e32 v2, v3, v3
	v_mul_f32_e32 v4, v3, v2
	v_mov_b32_e32 v9, 1.0
	v_mov_b32_e32 v5, v4
	s_mov_b64 s[14:15], 0
	s_brev_b32 s16, 44
	v_mov_b32_e32 v2, v9
	v_mov_b32_e32 v6, 1.0
	v_mov_b32_e32 v7, v3
.LBB19_178:                             ; =>This Inner Loop Header: Depth=1
	v_pk_mul_f32 v[6:7], v[4:5], v[6:7]
	v_add_f32_e32 v10, 1.0, v9
	v_add_f32_e32 v11, 1.0, v10
	v_div_scale_f32 v12, s[0:1], v10, v10, v6
	v_rcp_f32_e32 v14, v12
	v_div_scale_f32 v15, s[0:1], v11, v11, v7
	v_rcp_f32_e32 v17, v15
	v_fma_f32 v18, -v12, v14, 1.0
	v_div_scale_f32 v13, vcc, v6, v10, v6
	v_fmac_f32_e32 v14, v18, v14
	v_fma_f32 v18, -v15, v17, 1.0
	v_div_scale_f32 v16, s[0:1], v7, v11, v7
	v_mul_f32_e32 v19, v13, v14
	v_fmac_f32_e32 v17, v18, v17
	v_fma_f32 v18, -v12, v19, v13
	v_mul_f32_e32 v20, v16, v17
	v_fmac_f32_e32 v19, v18, v14
	v_fma_f32 v18, -v15, v20, v16
	v_fma_f32 v12, -v12, v19, v13
	v_fmac_f32_e32 v20, v18, v17
	v_div_fmas_f32 v12, v12, v14, v19
	v_fma_f32 v13, -v15, v20, v16
	s_mov_b64 vcc, s[0:1]
	v_div_fixup_f32 v6, v12, v10, v6
	v_div_fmas_f32 v10, v13, v17, v20
	v_add_f32_e32 v9, 1.0, v11
	v_div_fixup_f32 v7, v10, v11, v7
	v_div_scale_f32 v10, s[0:1], v11, v11, v6
	v_div_scale_f32 v13, s[18:19], v9, v9, v7
	v_rcp_f32_e32 v15, v10
	v_rcp_f32_e32 v16, v13
	v_div_scale_f32 v12, s[0:1], v6, v11, v6
	v_fma_f32 v17, -v10, v15, 1.0
	v_fma_f32 v18, -v13, v16, 1.0
	v_div_scale_f32 v14, vcc, v7, v9, v7
	v_fmac_f32_e32 v15, v17, v15
	v_fmac_f32_e32 v16, v18, v16
	v_mul_f32_e32 v17, v12, v15
	v_mul_f32_e32 v18, v14, v16
	v_fma_f32 v19, -v10, v17, v12
	v_fma_f32 v20, -v13, v18, v14
	v_fmac_f32_e32 v17, v19, v15
	v_fmac_f32_e32 v18, v20, v16
	v_fma_f32 v10, -v10, v17, v12
	v_fma_f32 v12, -v13, v18, v14
	v_div_fmas_f32 v12, v12, v16, v18
	s_mov_b64 vcc, s[0:1]
	v_div_fmas_f32 v10, v10, v15, v17
	v_div_fixup_f32 v7, v12, v9, v7
	v_div_fixup_f32 v6, v10, v11, v6
	v_pk_add_f32 v[2:3], v[2:3], v[6:7]
	v_div_scale_f32 v10, s[0:1], v2, v2, v6
	v_rcp_f32_e32 v11, v10
	v_div_scale_f32 v12, vcc, v6, v2, v6
	v_fma_f32 v13, -v10, v11, 1.0
	v_fmac_f32_e32 v11, v13, v11
	v_mul_f32_e32 v13, v12, v11
	v_fma_f32 v14, -v10, v13, v12
	v_fmac_f32_e32 v13, v14, v11
	v_fma_f32 v10, -v10, v13, v12
	v_div_fmas_f32 v10, v10, v11, v13
	v_div_fixup_f32 v10, v10, v2, v6
	v_cmp_ngt_f32_e64 s[0:1], |v10|, s16
	s_or_b64 s[14:15], s[0:1], s[14:15]
	s_andn2_b64 exec, exec, s[14:15]
	s_cbranch_execnz .LBB19_178
; %bb.179:
	s_or_b64 exec, exec, s[14:15]
	s_mov_b32 s0, 0x3eb5c63d
	s_mov_b32 s1, 0x3e8483fa
	v_pk_mul_f32 v[2:3], v[2:3], s[0:1]
	v_sub_f32_e32 v2, v2, v3
	v_cndmask_b32_e64 v1, v1, v2, s[6:7]
.LBB19_180:
	s_or_b64 exec, exec, s[12:13]
                                        ; implicit-def: $vgpr3
.LBB19_181:
	s_andn2_saveexec_b64 s[12:13], s[2:3]
	s_cbranch_execz .LBB19_216
; %bb.182:
	s_mov_b32 s0, 0x8f800000
	v_mul_f32_e32 v1, 0xcf800000, v3
	v_cmp_lt_f32_e32 vcc, s0, v3
	v_cndmask_b32_e64 v1, -v3, v1, vcc
	v_sqrt_f32_e32 v2, v1
	v_mul_f32_e32 v3, -2.0, v3
	s_mov_b32 s2, 0x40400000
	v_add_u32_e32 v4, -1, v2
	v_fma_f32 v5, -v4, v2, v1
	v_cmp_ge_f32_e64 s[0:1], 0, v5
	v_add_u32_e32 v5, 1, v2
	v_cndmask_b32_e64 v4, v2, v4, s[0:1]
	v_fma_f32 v2, -v5, v2, v1
	v_cmp_lt_f32_e64 s[0:1], 0, v2
	v_cndmask_b32_e64 v2, v4, v5, s[0:1]
	v_mul_f32_e32 v4, 0x37800000, v2
	v_cndmask_b32_e32 v2, v2, v4, vcc
	v_mov_b32_e32 v4, 0x260
	v_cmp_class_f32_e32 vcc, v1, v4
	v_cndmask_b32_e32 v1, v2, v1, vcc
	v_mul_f32_e32 v2, v3, v1
	v_div_scale_f32 v3, s[0:1], s2, s2, v2
	v_rcp_f32_e32 v4, v3
	s_brev_b32 s0, 18
	v_fma_f32 v5, -v3, v4, 1.0
	v_fmac_f32_e32 v4, v5, v4
	v_div_scale_f32 v5, vcc, v2, s2, v2
	v_mul_f32_e32 v6, v5, v4
	v_fma_f32 v7, -v3, v6, v5
	v_fmac_f32_e32 v6, v7, v4
	v_fma_f32 v3, -v3, v6, v5
	v_div_fmas_f32 v3, v3, v4, v6
	v_div_fixup_f32 v4, v3, s2, v2
	v_add_f32_e32 v2, 0x3f490fdb, v4
	v_and_b32_e32 v3, 0x7fffffff, v2
	v_cmp_nlt_f32_e64 s[14:15], |v2|, s0
                                        ; implicit-def: $vgpr5
                                        ; implicit-def: $vgpr6
	s_and_saveexec_b64 s[0:1], s[14:15]
	s_xor_b64 s[16:17], exec, s[0:1]
	s_cbranch_execz .LBB19_205
; %bb.183:
	v_lshrrev_b32_e32 v5, 23, v3
	v_add_u32_e32 v5, 0xffffff88, v5
	v_not_b32_e32 v6, 63
	v_cmp_lt_u32_e32 vcc, 63, v5
	v_cndmask_b32_e32 v6, 0, v6, vcc
	v_add_u32_e32 v5, v6, v5
	v_not_b32_e32 v6, 31
	v_cmp_lt_u32_e64 s[0:1], 31, v5
	v_cndmask_b32_e64 v9, 0, v6, s[0:1]
	v_add_u32_e32 v5, v9, v5
	v_cmp_lt_u32_e64 s[2:3], 31, v5
	v_cndmask_b32_e64 v6, 0, v6, s[2:3]
	v_add_u32_e32 v5, v6, v5
	v_and_b32_e32 v6, 0x7fffff, v3
	v_or_b32_e32 v9, 0x800000, v6
	s_mov_b32 s6, 0xfe5163ab
	v_mad_u64_u32 v[10:11], s[6:7], v9, s6, 0
	v_mov_b32_e32 v7, 0
	v_mov_b32_e32 v6, v11
	s_mov_b32 s6, 0x3c439041
	v_mad_u64_u32 v[12:13], s[6:7], v9, s6, v[6:7]
	v_mov_b32_e32 v6, v13
	s_mov_b32 s6, 0xdb629599
	v_mad_u64_u32 v[14:15], s[6:7], v9, s6, v[6:7]
	;; [unrolled: 3-line block ×6, first 2 shown]
	v_cndmask_b32_e32 v11, v20, v16, vcc
	v_cndmask_b32_e32 v6, v6, v18, vcc
	;; [unrolled: 1-line block ×3, first 2 shown]
	v_cndmask_b32_e64 v9, v6, v11, s[0:1]
	v_cndmask_b32_e64 v6, v7, v6, s[0:1]
	v_cndmask_b32_e32 v7, v18, v14, vcc
	v_cndmask_b32_e64 v11, v11, v7, s[0:1]
	v_cndmask_b32_e64 v6, v6, v9, s[2:3]
	;; [unrolled: 1-line block ×3, first 2 shown]
	v_sub_u32_e32 v13, 32, v5
	v_alignbit_b32 v15, v6, v9, v13
	v_cmp_eq_u32_e64 s[6:7], 0, v5
	v_cndmask_b32_e64 v5, v15, v6, s[6:7]
	v_cndmask_b32_e32 v6, v16, v12, vcc
	v_cndmask_b32_e64 v7, v7, v6, s[0:1]
	v_cndmask_b32_e64 v11, v11, v7, s[2:3]
	v_alignbit_b32 v12, v9, v11, v13
	v_cndmask_b32_e64 v9, v12, v9, s[6:7]
	v_bfe_u32 v16, v5, 29, 1
	v_cndmask_b32_e32 v10, v14, v10, vcc
	v_alignbit_b32 v12, v5, v9, 30
	v_sub_u32_e32 v17, 0, v16
	v_cndmask_b32_e64 v6, v6, v10, s[0:1]
	v_xor_b32_e32 v18, v12, v17
	v_cndmask_b32_e64 v6, v7, v6, s[2:3]
	v_alignbit_b32 v7, v11, v6, v13
	v_ffbh_u32_e32 v10, v18
	v_cndmask_b32_e64 v7, v7, v11, s[6:7]
	v_add_u32_e32 v10, 1, v10
	v_cmp_ne_u32_e32 vcc, v12, v17
	v_alignbit_b32 v9, v9, v7, 30
	v_cndmask_b32_e32 v10, 33, v10, vcc
	v_alignbit_b32 v6, v7, v6, 30
	v_xor_b32_e32 v9, v9, v17
	v_sub_u32_e32 v11, 32, v10
	v_xor_b32_e32 v6, v6, v17
	v_alignbit_b32 v12, v18, v9, v11
	v_alignbit_b32 v6, v9, v6, v11
	;; [unrolled: 1-line block ×3, first 2 shown]
	v_ffbh_u32_e32 v9, v7
	v_min_u32_e32 v9, 32, v9
	v_lshrrev_b32_e32 v15, 29, v5
	v_sub_u32_e32 v11, 31, v9
	v_alignbit_b32 v6, v7, v6, v11
	v_lshlrev_b32_e32 v7, 31, v15
	v_or_b32_e32 v11, 0x33800000, v7
	v_add_lshl_u32 v9, v9, v10, 23
	v_lshrrev_b32_e32 v6, 9, v6
	v_sub_u32_e32 v9, v11, v9
	v_or_b32_e32 v6, v9, v6
	v_alignbit_b32 v9, v10, v12, 9
	v_or_b32_e32 v7, v9, v7
	v_xor_b32_e32 v7, 1.0, v7
	s_mov_b32 s0, 0x3fc90fda
	v_mul_f32_e32 v9, 0x3fc90fda, v7
	v_fma_f32 v10, v7, s0, -v9
	v_fmac_f32_e32 v10, 0x33a22168, v7
	v_fmac_f32_e32 v10, 0x3fc90fda, v6
	v_lshrrev_b32_e32 v5, 30, v5
	v_add_f32_e32 v6, v9, v10
	v_add_u32_e32 v5, v16, v5
	s_andn2_saveexec_b64 s[0:1], s[16:17]
	s_branch .LBB19_206
.LBB19_184:
	s_mov_b32 s7, s6
	v_pk_mov_b32 v[0:1], s[6:7], s[6:7] op_sel:[0,1]
                                        ; implicit-def: $vgpr2
	v_mov_b32_e32 v3, v8
.LBB19_185:
	s_and_b32 s7, s59, 3
	s_cmp_eq_u32 s7, 0
	s_cbranch_scc1 .LBB19_189
; %bb.186:
	s_lshl_b32 s0, s6, 3
	s_add_u32 s0, s0, s4
	s_addc_u32 s1, s5, 0
	s_add_u32 s0, s0, 0xc4
	s_addc_u32 s1, s1, 0
	s_mul_i32 s2, s6, 12
	s_add_u32 s2, s4, s2
	s_addc_u32 s3, s5, 0
.LBB19_187:                             ; =>This Inner Loop Header: Depth=1
	s_load_dwordx2 s[8:9], s[2:3], 0x4
	s_load_dword s6, s[2:3], 0xc
	s_load_dwordx2 s[10:11], s[0:1], 0x0
	v_mov_b32_e32 v2, v1
	s_add_u32 s2, s2, 12
	s_waitcnt lgkmcnt(0)
	v_mul_hi_u32 v1, s9, v3
	v_add_u32_e32 v1, v3, v1
	v_lshrrev_b32_e32 v1, s6, v1
	s_addc_u32 s3, s3, 0
	v_mul_lo_u32 v4, v1, s8
	s_add_u32 s0, s0, 8
	v_sub_u32_e32 v6, v3, v4
	v_mov_b32_e32 v3, v1
	s_addc_u32 s1, s1, 0
	s_add_i32 s7, s7, -1
	v_mad_u64_u32 v[4:5], s[8:9], v6, s11, v[2:3]
	v_mad_u64_u32 v[0:1], s[8:9], v6, s10, v[0:1]
	s_cmp_lg_u32 s7, 0
	v_mov_b32_e32 v1, v4
	s_cbranch_scc1 .LBB19_187
; %bb.188:
	v_mov_b32_e32 v2, v1
.LBB19_189:
	s_cbranch_execnz .LBB19_192
.LBB19_190:
	s_waitcnt lgkmcnt(0)
	v_mul_hi_u32 v0, s37, v8
	v_add_u32_e32 v0, v8, v0
	v_lshrrev_b32_e32 v1, s38, v0
	v_mul_lo_u32 v0, v1, s36
	v_sub_u32_e32 v0, v8, v0
	v_mul_lo_u32 v2, v0, s29
	s_andn2_b64 vcc, exec, s[44:45]
	v_mul_lo_u32 v0, v0, s28
	s_cbranch_vccnz .LBB19_192
; %bb.191:
	v_mul_hi_u32 v3, s42, v1
	v_add_u32_e32 v3, v1, v3
	v_lshrrev_b32_e32 v3, s43, v3
	v_mul_lo_u32 v3, v3, s39
	v_sub_u32_e32 v3, v1, v3
	v_mad_u64_u32 v[0:1], s[0:1], v3, s30, v[0:1]
	v_mad_u64_u32 v[2:3], s[0:1], v3, s31, v[2:3]
.LBB19_192:
	s_waitcnt lgkmcnt(0)
	global_load_dword v3, v2, s[26:27]
	s_mov_b32 s0, 0x7f800000
	v_mov_b32_e32 v1, 0x7fc00000
	s_waitcnt vmcnt(0)
	v_cmp_neq_f32_e64 s[0:1], |v3|, s0
	s_and_saveexec_b64 s[8:9], s[0:1]
	s_cbranch_execz .LBB19_253
; %bb.193:
	s_mov_b32 s0, 0x42cfc8b4
	v_cmp_nlt_f32_e32 vcc, s0, v3
	v_mov_b32_e32 v1, 0
	s_and_saveexec_b64 s[10:11], vcc
	s_cbranch_execz .LBB19_252
; %bb.194:
	s_mov_b32 s0, 0xc005c28f
	v_cmp_ngt_f32_e32 vcc, s0, v3
                                        ; implicit-def: $vgpr1
	s_and_saveexec_b64 s[0:1], vcc
	s_xor_b64 s[2:3], exec, s[0:1]
	s_cbranch_execz .LBB19_202
; %bb.195:
	s_mov_b32 s0, 0x4005c28f
	v_cmp_nle_f32_e64 s[6:7], s0, v3
	v_cmp_le_f32_e32 vcc, s0, v3
	v_mov_b32_e32 v1, 0
	s_mov_b64 s[0:1], s[6:7]
	s_and_saveexec_b64 s[12:13], vcc
	s_cbranch_execz .LBB19_197
; %bb.196:
	s_mov_b32 s14, 0xf800000
	v_mul_f32_e32 v1, 0x4f800000, v3
	v_cmp_gt_f32_e32 vcc, s14, v3
	v_cndmask_b32_e32 v1, v3, v1, vcc
	v_sqrt_f32_e32 v2, v1
	v_add_f32_e32 v4, v3, v3
	s_mov_b32 s15, 0x40400000
	v_add_u32_e32 v5, -1, v2
	v_fma_f32 v6, -v5, v2, v1
	v_cmp_ge_f32_e64 s[0:1], 0, v6
	v_add_u32_e32 v6, 1, v2
	v_cndmask_b32_e64 v5, v2, v5, s[0:1]
	v_fma_f32 v2, -v6, v2, v1
	v_cmp_lt_f32_e64 s[0:1], 0, v2
	v_cndmask_b32_e64 v2, v5, v6, s[0:1]
	v_mul_f32_e32 v5, 0x37800000, v2
	v_cndmask_b32_e32 v2, v2, v5, vcc
	v_mov_b32_e32 v5, 0x260
	v_cmp_class_f32_e32 vcc, v1, v5
	v_cndmask_b32_e32 v1, v2, v1, vcc
	v_mul_f32_e32 v2, v4, v1
	v_div_scale_f32 v4, s[0:1], s15, s15, v2
	v_rcp_f32_e32 v6, v4
	v_fma_f32 v7, -v4, v6, 1.0
	v_fmac_f32_e32 v6, v7, v6
	v_div_scale_f32 v7, vcc, v2, s15, v2
	v_mul_f32_e32 v9, v7, v6
	v_fma_f32 v10, -v4, v9, v7
	v_fmac_f32_e32 v9, v10, v6
	v_fma_f32 v4, -v4, v9, v7
	v_div_fmas_f32 v4, v4, v6, v9
	v_div_fixup_f32 v2, v4, s15, v2
	v_div_scale_f32 v4, s[0:1], v2, v2, 1.0
	v_rcp_f32_e32 v6, v4
	v_fma_f32 v7, -v4, v6, 1.0
	v_fmac_f32_e32 v6, v7, v6
	v_div_scale_f32 v7, vcc, 1.0, v2, 1.0
	v_mul_f32_e32 v9, v7, v6
	v_fma_f32 v10, -v4, v9, v7
	v_fmac_f32_e32 v9, v10, v6
	v_fma_f32 v4, -v4, v9, v7
	v_div_fmas_f32 v4, v4, v6, v9
	v_div_fixup_f32 v4, v4, v2, 1.0
	v_mov_b32_e32 v6, 0x3eb16d71
	v_fmac_f32_e32 v6, 0, v4
	v_mov_b32_e32 v7, 0x41401f1c
	v_fmac_f32_e32 v7, v4, v6
	;; [unrolled: 2-line block ×14, first 2 shown]
	v_fma_f32 v7, v4, v7, 1.0
	v_fma_f32 v4, v4, v6, 1.0
	v_div_scale_f32 v6, s[0:1], v7, v7, v4
	v_rcp_f32_e32 v9, v6
	v_cmp_gt_f32_e64 s[0:1], s14, v1
	v_fma_f32 v10, -v6, v9, 1.0
	v_fmac_f32_e32 v9, v10, v9
	v_div_scale_f32 v10, vcc, v4, v7, v4
	v_mul_f32_e32 v11, v10, v9
	v_fma_f32 v12, -v6, v11, v10
	v_fmac_f32_e32 v11, v12, v9
	v_fma_f32 v6, -v6, v11, v10
	v_mul_f32_e32 v10, 0x4f800000, v1
	v_cndmask_b32_e64 v1, v1, v10, s[0:1]
	v_sqrt_f32_e32 v10, v1
	v_div_fmas_f32 v6, v6, v9, v11
	v_div_fixup_f32 v4, v6, v7, v4
	v_add_u32_e32 v6, -1, v10
	v_fma_f32 v7, -v6, v10, v1
	v_cmp_ge_f32_e32 vcc, 0, v7
	v_add_u32_e32 v7, 1, v10
	v_fma_f32 v9, -v7, v10, v1
	v_cndmask_b32_e32 v6, v10, v6, vcc
	v_cmp_lt_f32_e32 vcc, 0, v9
	v_cndmask_b32_e32 v6, v6, v7, vcc
	v_mul_f32_e32 v7, 0x37800000, v6
	v_cndmask_b32_e64 v6, v6, v7, s[0:1]
	v_cmp_class_f32_e32 vcc, v1, v5
	v_cndmask_b32_e32 v5, v6, v1, vcc
	s_mov_b32 s0, 0x3fb8aa3b
	v_mul_f32_e32 v1, 0x3fb8aa3b, v2
	v_fma_f32 v6, v2, s0, -v1
	v_rndne_f32_e32 v7, v1
	v_fmac_f32_e32 v6, 0x32a5705f, v2
	v_sub_f32_e32 v1, v1, v7
	v_add_f32_e32 v1, v1, v6
	v_exp_f32_e32 v1, v1
	v_cvt_i32_f32_e32 v6, v7
	s_mov_b32 s0, 0x3f106ebb
	s_mov_b32 s1, 2.0
	v_pk_mul_f32 v[4:5], v[4:5], s[0:1]
	s_mov_b32 s0, 0xc2ce8ed0
	v_ldexp_f32 v1, v1, v6
	v_cmp_ngt_f32_e32 vcc, s0, v2
	s_mov_b32 s0, 0x42b17218
	v_cndmask_b32_e32 v1, 0, v1, vcc
	v_mov_b32_e32 v6, 0x7f800000
	v_cmp_nlt_f32_e32 vcc, s0, v2
	v_cndmask_b32_e32 v1, v6, v1, vcc
	v_mul_f32_e32 v1, v5, v1
	v_div_scale_f32 v2, s[0:1], v1, v1, v4
	v_rcp_f32_e32 v5, v2
	s_mov_b32 s0, 0x41052018
	v_fma_f32 v6, -v2, v5, 1.0
	v_fmac_f32_e32 v5, v6, v5
	v_div_scale_f32 v6, vcc, v4, v1, v4
	v_mul_f32_e32 v7, v6, v5
	v_fma_f32 v9, -v2, v7, v6
	v_fmac_f32_e32 v7, v9, v5
	v_fma_f32 v2, -v2, v7, v6
	v_div_fmas_f32 v2, v2, v5, v7
	v_cmp_nlt_f32_e32 vcc, s0, v3
	s_andn2_b64 s[0:1], s[6:7], exec
	s_and_b64 s[14:15], vcc, exec
	v_div_fixup_f32 v1, v2, v1, v4
	s_or_b64 s[0:1], s[0:1], s[14:15]
.LBB19_197:
	s_or_b64 exec, exec, s[12:13]
	s_and_saveexec_b64 s[12:13], s[0:1]
	s_cbranch_execz .LBB19_201
; %bb.198:
	v_mul_f32_e32 v2, v3, v3
	v_mul_f32_e32 v4, v3, v2
	v_mov_b32_e32 v9, 1.0
	v_mov_b32_e32 v5, v4
	s_mov_b64 s[14:15], 0
	s_brev_b32 s16, 44
	v_mov_b32_e32 v2, v9
	v_mov_b32_e32 v6, 1.0
	v_mov_b32_e32 v7, v3
.LBB19_199:                             ; =>This Inner Loop Header: Depth=1
	v_pk_mul_f32 v[6:7], v[4:5], v[6:7]
	v_add_f32_e32 v10, 1.0, v9
	v_add_f32_e32 v11, 1.0, v10
	v_div_scale_f32 v12, s[0:1], v10, v10, v6
	v_rcp_f32_e32 v14, v12
	v_div_scale_f32 v15, s[0:1], v11, v11, v7
	v_rcp_f32_e32 v17, v15
	v_fma_f32 v18, -v12, v14, 1.0
	v_div_scale_f32 v13, vcc, v6, v10, v6
	v_fmac_f32_e32 v14, v18, v14
	v_fma_f32 v18, -v15, v17, 1.0
	v_div_scale_f32 v16, s[0:1], v7, v11, v7
	v_mul_f32_e32 v19, v13, v14
	v_fmac_f32_e32 v17, v18, v17
	v_fma_f32 v18, -v12, v19, v13
	v_mul_f32_e32 v20, v16, v17
	v_fmac_f32_e32 v19, v18, v14
	v_fma_f32 v18, -v15, v20, v16
	v_fma_f32 v12, -v12, v19, v13
	v_fmac_f32_e32 v20, v18, v17
	v_div_fmas_f32 v12, v12, v14, v19
	v_fma_f32 v13, -v15, v20, v16
	s_mov_b64 vcc, s[0:1]
	v_div_fixup_f32 v6, v12, v10, v6
	v_div_fmas_f32 v10, v13, v17, v20
	v_add_f32_e32 v9, 1.0, v11
	v_div_fixup_f32 v7, v10, v11, v7
	v_div_scale_f32 v10, s[0:1], v11, v11, v6
	v_div_scale_f32 v13, s[18:19], v9, v9, v7
	v_rcp_f32_e32 v15, v10
	v_rcp_f32_e32 v16, v13
	v_div_scale_f32 v12, s[0:1], v6, v11, v6
	v_fma_f32 v17, -v10, v15, 1.0
	v_fma_f32 v18, -v13, v16, 1.0
	v_div_scale_f32 v14, vcc, v7, v9, v7
	v_fmac_f32_e32 v15, v17, v15
	v_fmac_f32_e32 v16, v18, v16
	v_mul_f32_e32 v17, v12, v15
	v_mul_f32_e32 v18, v14, v16
	v_fma_f32 v19, -v10, v17, v12
	v_fma_f32 v20, -v13, v18, v14
	v_fmac_f32_e32 v17, v19, v15
	v_fmac_f32_e32 v18, v20, v16
	v_fma_f32 v10, -v10, v17, v12
	v_fma_f32 v12, -v13, v18, v14
	v_div_fmas_f32 v12, v12, v16, v18
	s_mov_b64 vcc, s[0:1]
	v_div_fmas_f32 v10, v10, v15, v17
	v_div_fixup_f32 v7, v12, v9, v7
	v_div_fixup_f32 v6, v10, v11, v6
	v_pk_add_f32 v[2:3], v[2:3], v[6:7]
	v_div_scale_f32 v10, s[0:1], v2, v2, v6
	v_rcp_f32_e32 v11, v10
	v_div_scale_f32 v12, vcc, v6, v2, v6
	v_fma_f32 v13, -v10, v11, 1.0
	v_fmac_f32_e32 v11, v13, v11
	v_mul_f32_e32 v13, v12, v11
	v_fma_f32 v14, -v10, v13, v12
	v_fmac_f32_e32 v13, v14, v11
	v_fma_f32 v10, -v10, v13, v12
	v_div_fmas_f32 v10, v10, v11, v13
	v_div_fixup_f32 v10, v10, v2, v6
	v_cmp_ngt_f32_e64 s[0:1], |v10|, s16
	s_or_b64 s[14:15], s[0:1], s[14:15]
	s_andn2_b64 exec, exec, s[14:15]
	s_cbranch_execnz .LBB19_199
; %bb.200:
	s_or_b64 exec, exec, s[14:15]
	s_mov_b32 s0, 0x3eb5c63d
	s_mov_b32 s1, 0x3e8483fa
	v_pk_mul_f32 v[2:3], v[2:3], s[0:1]
	v_sub_f32_e32 v2, v2, v3
	v_cndmask_b32_e64 v1, v1, v2, s[6:7]
.LBB19_201:
	s_or_b64 exec, exec, s[12:13]
                                        ; implicit-def: $vgpr3
.LBB19_202:
	s_andn2_saveexec_b64 s[12:13], s[2:3]
	s_cbranch_execz .LBB19_251
; %bb.203:
	s_mov_b32 s0, 0x8f800000
	v_mul_f32_e32 v1, 0xcf800000, v3
	v_cmp_lt_f32_e32 vcc, s0, v3
	v_cndmask_b32_e64 v1, -v3, v1, vcc
	v_sqrt_f32_e32 v2, v1
	v_mul_f32_e32 v3, -2.0, v3
	s_mov_b32 s2, 0x40400000
	v_add_u32_e32 v4, -1, v2
	v_fma_f32 v5, -v4, v2, v1
	v_cmp_ge_f32_e64 s[0:1], 0, v5
	v_add_u32_e32 v5, 1, v2
	v_cndmask_b32_e64 v4, v2, v4, s[0:1]
	v_fma_f32 v2, -v5, v2, v1
	v_cmp_lt_f32_e64 s[0:1], 0, v2
	v_cndmask_b32_e64 v2, v4, v5, s[0:1]
	v_mul_f32_e32 v4, 0x37800000, v2
	v_cndmask_b32_e32 v2, v2, v4, vcc
	v_mov_b32_e32 v4, 0x260
	v_cmp_class_f32_e32 vcc, v1, v4
	v_cndmask_b32_e32 v1, v2, v1, vcc
	v_mul_f32_e32 v2, v3, v1
	v_div_scale_f32 v3, s[0:1], s2, s2, v2
	v_rcp_f32_e32 v4, v3
	s_brev_b32 s0, 18
	v_fma_f32 v5, -v3, v4, 1.0
	v_fmac_f32_e32 v4, v5, v4
	v_div_scale_f32 v5, vcc, v2, s2, v2
	v_mul_f32_e32 v6, v5, v4
	v_fma_f32 v7, -v3, v6, v5
	v_fmac_f32_e32 v6, v7, v4
	v_fma_f32 v3, -v3, v6, v5
	v_div_fmas_f32 v3, v3, v4, v6
	v_div_fixup_f32 v4, v3, s2, v2
	v_add_f32_e32 v2, 0x3f490fdb, v4
	v_and_b32_e32 v3, 0x7fffffff, v2
	v_cmp_nlt_f32_e64 s[14:15], |v2|, s0
                                        ; implicit-def: $vgpr5
                                        ; implicit-def: $vgpr6
	s_and_saveexec_b64 s[0:1], s[14:15]
	s_xor_b64 s[16:17], exec, s[0:1]
	s_cbranch_execz .LBB19_209
; %bb.204:
	v_lshrrev_b32_e32 v5, 23, v3
	v_add_u32_e32 v5, 0xffffff88, v5
	v_not_b32_e32 v6, 63
	v_cmp_lt_u32_e32 vcc, 63, v5
	v_cndmask_b32_e32 v6, 0, v6, vcc
	v_add_u32_e32 v5, v6, v5
	v_not_b32_e32 v6, 31
	v_cmp_lt_u32_e64 s[0:1], 31, v5
	v_cndmask_b32_e64 v9, 0, v6, s[0:1]
	v_add_u32_e32 v5, v9, v5
	v_cmp_lt_u32_e64 s[2:3], 31, v5
	v_cndmask_b32_e64 v6, 0, v6, s[2:3]
	v_add_u32_e32 v5, v6, v5
	v_and_b32_e32 v6, 0x7fffff, v3
	v_or_b32_e32 v9, 0x800000, v6
	s_mov_b32 s6, 0xfe5163ab
	v_mad_u64_u32 v[10:11], s[6:7], v9, s6, 0
	v_mov_b32_e32 v7, 0
	v_mov_b32_e32 v6, v11
	s_mov_b32 s6, 0x3c439041
	v_mad_u64_u32 v[12:13], s[6:7], v9, s6, v[6:7]
	v_mov_b32_e32 v6, v13
	s_mov_b32 s6, 0xdb629599
	v_mad_u64_u32 v[14:15], s[6:7], v9, s6, v[6:7]
	;; [unrolled: 3-line block ×6, first 2 shown]
	v_cndmask_b32_e32 v11, v20, v16, vcc
	v_cndmask_b32_e32 v6, v6, v18, vcc
	;; [unrolled: 1-line block ×3, first 2 shown]
	v_cndmask_b32_e64 v9, v6, v11, s[0:1]
	v_cndmask_b32_e64 v6, v7, v6, s[0:1]
	v_cndmask_b32_e32 v7, v18, v14, vcc
	v_cndmask_b32_e64 v11, v11, v7, s[0:1]
	v_cndmask_b32_e64 v6, v6, v9, s[2:3]
	;; [unrolled: 1-line block ×3, first 2 shown]
	v_sub_u32_e32 v13, 32, v5
	v_alignbit_b32 v15, v6, v9, v13
	v_cmp_eq_u32_e64 s[6:7], 0, v5
	v_cndmask_b32_e64 v5, v15, v6, s[6:7]
	v_cndmask_b32_e32 v6, v16, v12, vcc
	v_cndmask_b32_e64 v7, v7, v6, s[0:1]
	v_cndmask_b32_e64 v11, v11, v7, s[2:3]
	v_alignbit_b32 v12, v9, v11, v13
	v_cndmask_b32_e64 v9, v12, v9, s[6:7]
	v_bfe_u32 v16, v5, 29, 1
	v_cndmask_b32_e32 v10, v14, v10, vcc
	v_alignbit_b32 v12, v5, v9, 30
	v_sub_u32_e32 v17, 0, v16
	v_cndmask_b32_e64 v6, v6, v10, s[0:1]
	v_xor_b32_e32 v18, v12, v17
	v_cndmask_b32_e64 v6, v7, v6, s[2:3]
	v_alignbit_b32 v7, v11, v6, v13
	v_ffbh_u32_e32 v10, v18
	v_cndmask_b32_e64 v7, v7, v11, s[6:7]
	v_add_u32_e32 v10, 1, v10
	v_cmp_ne_u32_e32 vcc, v12, v17
	v_alignbit_b32 v9, v9, v7, 30
	v_cndmask_b32_e32 v10, 33, v10, vcc
	v_alignbit_b32 v6, v7, v6, 30
	v_xor_b32_e32 v9, v9, v17
	v_sub_u32_e32 v11, 32, v10
	v_xor_b32_e32 v6, v6, v17
	v_alignbit_b32 v12, v18, v9, v11
	v_alignbit_b32 v6, v9, v6, v11
	;; [unrolled: 1-line block ×3, first 2 shown]
	v_ffbh_u32_e32 v9, v7
	v_min_u32_e32 v9, 32, v9
	v_lshrrev_b32_e32 v15, 29, v5
	v_sub_u32_e32 v11, 31, v9
	v_alignbit_b32 v6, v7, v6, v11
	v_lshlrev_b32_e32 v7, 31, v15
	v_or_b32_e32 v11, 0x33800000, v7
	v_add_lshl_u32 v9, v9, v10, 23
	v_lshrrev_b32_e32 v6, 9, v6
	v_sub_u32_e32 v9, v11, v9
	v_or_b32_e32 v6, v9, v6
	v_alignbit_b32 v9, v10, v12, 9
	v_or_b32_e32 v7, v9, v7
	v_xor_b32_e32 v7, 1.0, v7
	s_mov_b32 s0, 0x3fc90fda
	v_mul_f32_e32 v9, 0x3fc90fda, v7
	v_fma_f32 v10, v7, s0, -v9
	v_fmac_f32_e32 v10, 0x33a22168, v7
	v_fmac_f32_e32 v10, 0x3fc90fda, v6
	v_lshrrev_b32_e32 v5, 30, v5
	v_add_f32_e32 v6, v9, v10
	v_add_u32_e32 v5, v16, v5
	s_andn2_saveexec_b64 s[0:1], s[16:17]
	s_branch .LBB19_210
.LBB19_205:
	s_andn2_saveexec_b64 s[0:1], s[16:17]
.LBB19_206:
	s_mov_b32 s2, 0x3f22f983
	v_mul_f32_e64 v5, |v2|, s2
	v_rndne_f32_e32 v7, v5
	s_mov_b32 s2, 0xbfc90fda
	v_cvt_i32_f32_e32 v5, v7
	v_fma_f32 v6, v7, s2, |v2|
	v_fmac_f32_e32 v6, 0xb3a22168, v7
	v_fmac_f32_e32 v6, 0xa7c234c4, v7
; %bb.207:
	s_or_b64 exec, exec, s[0:1]
                                        ; implicit-def: $vgpr7
                                        ; implicit-def: $vgpr9
	s_and_saveexec_b64 s[0:1], s[14:15]
	s_xor_b64 s[14:15], exec, s[0:1]
	s_cbranch_execz .LBB19_213
; %bb.208:
	v_lshrrev_b32_e32 v7, 23, v3
	v_add_u32_e32 v7, 0xffffff88, v7
	v_not_b32_e32 v9, 63
	v_cmp_lt_u32_e32 vcc, 63, v7
	v_cndmask_b32_e32 v9, 0, v9, vcc
	v_add_u32_e32 v7, v9, v7
	v_not_b32_e32 v9, 31
	v_cmp_lt_u32_e64 s[0:1], 31, v7
	v_cndmask_b32_e64 v10, 0, v9, s[0:1]
	v_add_u32_e32 v7, v10, v7
	v_cmp_lt_u32_e64 s[2:3], 31, v7
	v_cndmask_b32_e64 v9, 0, v9, s[2:3]
	v_add_u32_e32 v7, v9, v7
	v_and_b32_e32 v9, 0x7fffff, v3
	v_or_b32_e32 v9, 0x800000, v9
	s_mov_b32 s6, 0xfe5163ab
	v_mad_u64_u32 v[12:13], s[6:7], v9, s6, 0
	v_mov_b32_e32 v11, 0
	v_mov_b32_e32 v10, v13
	s_mov_b32 s6, 0x3c439041
	v_mad_u64_u32 v[14:15], s[6:7], v9, s6, v[10:11]
	v_mov_b32_e32 v10, v15
	s_mov_b32 s6, 0xdb629599
	v_mad_u64_u32 v[16:17], s[6:7], v9, s6, v[10:11]
	;; [unrolled: 3-line block ×6, first 2 shown]
	v_cndmask_b32_e32 v13, v22, v18, vcc
	v_cndmask_b32_e32 v9, v10, v20, vcc
	;; [unrolled: 1-line block ×3, first 2 shown]
	v_cndmask_b32_e64 v10, v9, v13, s[0:1]
	v_cndmask_b32_e64 v9, v11, v9, s[0:1]
	v_cndmask_b32_e32 v11, v20, v16, vcc
	v_cndmask_b32_e64 v13, v13, v11, s[0:1]
	v_cndmask_b32_e64 v9, v9, v10, s[2:3]
	;; [unrolled: 1-line block ×3, first 2 shown]
	v_sub_u32_e32 v15, 32, v7
	v_alignbit_b32 v17, v9, v10, v15
	v_cmp_eq_u32_e64 s[6:7], 0, v7
	v_cndmask_b32_e64 v7, v17, v9, s[6:7]
	v_cndmask_b32_e32 v9, v18, v14, vcc
	v_cndmask_b32_e64 v11, v11, v9, s[0:1]
	v_cndmask_b32_e64 v13, v13, v11, s[2:3]
	v_alignbit_b32 v14, v10, v13, v15
	v_cndmask_b32_e64 v10, v14, v10, s[6:7]
	v_bfe_u32 v18, v7, 29, 1
	v_cndmask_b32_e32 v12, v16, v12, vcc
	v_alignbit_b32 v14, v7, v10, 30
	v_sub_u32_e32 v19, 0, v18
	v_cndmask_b32_e64 v9, v9, v12, s[0:1]
	v_xor_b32_e32 v20, v14, v19
	v_cndmask_b32_e64 v9, v11, v9, s[2:3]
	v_alignbit_b32 v11, v13, v9, v15
	v_ffbh_u32_e32 v12, v20
	v_cndmask_b32_e64 v11, v11, v13, s[6:7]
	v_add_u32_e32 v12, 1, v12
	v_cmp_ne_u32_e32 vcc, v14, v19
	v_alignbit_b32 v10, v10, v11, 30
	v_cndmask_b32_e32 v12, 33, v12, vcc
	v_alignbit_b32 v9, v11, v9, 30
	v_xor_b32_e32 v10, v10, v19
	v_sub_u32_e32 v13, 32, v12
	v_xor_b32_e32 v9, v9, v19
	v_alignbit_b32 v14, v20, v10, v13
	v_alignbit_b32 v9, v10, v9, v13
	;; [unrolled: 1-line block ×3, first 2 shown]
	v_ffbh_u32_e32 v11, v10
	v_min_u32_e32 v11, 32, v11
	v_lshrrev_b32_e32 v17, 29, v7
	v_sub_u32_e32 v13, 31, v11
	v_alignbit_b32 v9, v10, v9, v13
	v_lshlrev_b32_e32 v10, 31, v17
	v_or_b32_e32 v13, 0x33800000, v10
	v_add_lshl_u32 v11, v11, v12, 23
	v_lshrrev_b32_e32 v9, 9, v9
	v_sub_u32_e32 v11, v13, v11
	v_or_b32_e32 v9, v11, v9
	v_alignbit_b32 v11, v12, v14, 9
	v_or_b32_e32 v10, v11, v10
	v_xor_b32_e32 v10, 1.0, v10
	s_mov_b32 s0, 0x3fc90fda
	v_mul_f32_e32 v11, 0x3fc90fda, v10
	v_fma_f32 v12, v10, s0, -v11
	v_fmac_f32_e32 v12, 0x33a22168, v10
	v_fmac_f32_e32 v12, 0x3fc90fda, v9
	v_lshrrev_b32_e32 v7, 30, v7
	v_add_f32_e32 v9, v11, v12
	v_add_u32_e32 v7, v18, v7
	s_andn2_saveexec_b64 s[0:1], s[14:15]
	s_cbranch_execnz .LBB19_214
	s_branch .LBB19_215
.LBB19_209:
	s_andn2_saveexec_b64 s[0:1], s[16:17]
.LBB19_210:
	s_mov_b32 s2, 0x3f22f983
	v_mul_f32_e64 v5, |v2|, s2
	v_rndne_f32_e32 v7, v5
	s_mov_b32 s2, 0xbfc90fda
	v_cvt_i32_f32_e32 v5, v7
	v_fma_f32 v6, v7, s2, |v2|
	v_fmac_f32_e32 v6, 0xb3a22168, v7
	v_fmac_f32_e32 v6, 0xa7c234c4, v7
; %bb.211:
	s_or_b64 exec, exec, s[0:1]
                                        ; implicit-def: $vgpr7
                                        ; implicit-def: $vgpr9
	s_and_saveexec_b64 s[0:1], s[14:15]
	s_xor_b64 s[14:15], exec, s[0:1]
	s_cbranch_execz .LBB19_248
; %bb.212:
	v_lshrrev_b32_e32 v7, 23, v3
	v_add_u32_e32 v7, 0xffffff88, v7
	v_not_b32_e32 v9, 63
	v_cmp_lt_u32_e32 vcc, 63, v7
	v_cndmask_b32_e32 v9, 0, v9, vcc
	v_add_u32_e32 v7, v9, v7
	v_not_b32_e32 v9, 31
	v_cmp_lt_u32_e64 s[0:1], 31, v7
	v_cndmask_b32_e64 v10, 0, v9, s[0:1]
	v_add_u32_e32 v7, v10, v7
	v_cmp_lt_u32_e64 s[2:3], 31, v7
	v_cndmask_b32_e64 v9, 0, v9, s[2:3]
	v_add_u32_e32 v7, v9, v7
	v_and_b32_e32 v9, 0x7fffff, v3
	v_or_b32_e32 v9, 0x800000, v9
	s_mov_b32 s6, 0xfe5163ab
	v_mad_u64_u32 v[12:13], s[6:7], v9, s6, 0
	v_mov_b32_e32 v11, 0
	v_mov_b32_e32 v10, v13
	s_mov_b32 s6, 0x3c439041
	v_mad_u64_u32 v[14:15], s[6:7], v9, s6, v[10:11]
	v_mov_b32_e32 v10, v15
	s_mov_b32 s6, 0xdb629599
	v_mad_u64_u32 v[16:17], s[6:7], v9, s6, v[10:11]
	;; [unrolled: 3-line block ×6, first 2 shown]
	v_cndmask_b32_e32 v13, v22, v18, vcc
	v_cndmask_b32_e32 v9, v10, v20, vcc
	;; [unrolled: 1-line block ×3, first 2 shown]
	v_cndmask_b32_e64 v10, v9, v13, s[0:1]
	v_cndmask_b32_e64 v9, v11, v9, s[0:1]
	v_cndmask_b32_e32 v11, v20, v16, vcc
	v_cndmask_b32_e64 v13, v13, v11, s[0:1]
	v_cndmask_b32_e64 v9, v9, v10, s[2:3]
	;; [unrolled: 1-line block ×3, first 2 shown]
	v_sub_u32_e32 v15, 32, v7
	v_alignbit_b32 v17, v9, v10, v15
	v_cmp_eq_u32_e64 s[6:7], 0, v7
	v_cndmask_b32_e64 v7, v17, v9, s[6:7]
	v_cndmask_b32_e32 v9, v18, v14, vcc
	v_cndmask_b32_e64 v11, v11, v9, s[0:1]
	v_cndmask_b32_e64 v13, v13, v11, s[2:3]
	v_alignbit_b32 v14, v10, v13, v15
	v_cndmask_b32_e64 v10, v14, v10, s[6:7]
	v_bfe_u32 v18, v7, 29, 1
	v_cndmask_b32_e32 v12, v16, v12, vcc
	v_alignbit_b32 v14, v7, v10, 30
	v_sub_u32_e32 v19, 0, v18
	v_cndmask_b32_e64 v9, v9, v12, s[0:1]
	v_xor_b32_e32 v20, v14, v19
	v_cndmask_b32_e64 v9, v11, v9, s[2:3]
	v_alignbit_b32 v11, v13, v9, v15
	v_ffbh_u32_e32 v12, v20
	v_cndmask_b32_e64 v11, v11, v13, s[6:7]
	v_add_u32_e32 v12, 1, v12
	v_cmp_ne_u32_e32 vcc, v14, v19
	v_alignbit_b32 v10, v10, v11, 30
	v_cndmask_b32_e32 v12, 33, v12, vcc
	v_alignbit_b32 v9, v11, v9, 30
	v_xor_b32_e32 v10, v10, v19
	v_sub_u32_e32 v13, 32, v12
	v_xor_b32_e32 v9, v9, v19
	v_alignbit_b32 v14, v20, v10, v13
	v_alignbit_b32 v9, v10, v9, v13
	;; [unrolled: 1-line block ×3, first 2 shown]
	v_ffbh_u32_e32 v11, v10
	v_min_u32_e32 v11, 32, v11
	v_lshrrev_b32_e32 v17, 29, v7
	v_sub_u32_e32 v13, 31, v11
	v_alignbit_b32 v9, v10, v9, v13
	v_lshlrev_b32_e32 v10, 31, v17
	v_or_b32_e32 v13, 0x33800000, v10
	v_add_lshl_u32 v11, v11, v12, 23
	v_lshrrev_b32_e32 v9, 9, v9
	v_sub_u32_e32 v11, v13, v11
	v_or_b32_e32 v9, v11, v9
	v_alignbit_b32 v11, v12, v14, 9
	v_or_b32_e32 v10, v11, v10
	v_xor_b32_e32 v10, 1.0, v10
	s_mov_b32 s0, 0x3fc90fda
	v_mul_f32_e32 v11, 0x3fc90fda, v10
	v_fma_f32 v12, v10, s0, -v11
	v_fmac_f32_e32 v12, 0x33a22168, v10
	v_fmac_f32_e32 v12, 0x3fc90fda, v9
	v_lshrrev_b32_e32 v7, 30, v7
	v_add_f32_e32 v9, v11, v12
	v_add_u32_e32 v7, v18, v7
	s_andn2_saveexec_b64 s[0:1], s[14:15]
	s_cbranch_execnz .LBB19_249
	s_branch .LBB19_250
.LBB19_213:
	s_andn2_saveexec_b64 s[0:1], s[14:15]
.LBB19_214:
	s_mov_b32 s2, 0x3f22f983
	v_mul_f32_e64 v7, |v2|, s2
	v_rndne_f32_e32 v10, v7
	s_mov_b32 s2, 0xbfc90fda
	v_cvt_i32_f32_e32 v7, v10
	v_fma_f32 v9, v10, s2, |v2|
	v_fmac_f32_e32 v9, 0xb3a22168, v10
	v_fmac_f32_e32 v9, 0xa7c234c4, v10
.LBB19_215:
	s_or_b64 exec, exec, s[0:1]
	v_div_scale_f32 v10, s[0:1], v4, v4, 1.0
	v_rcp_f32_e32 v11, v10
	v_div_scale_f32 v12, vcc, 1.0, v4, 1.0
	v_mov_b32_e32 v17, 0xbab64f3b
	v_fma_f32 v13, -v10, v11, 1.0
	v_fmac_f32_e32 v11, v13, v11
	v_mul_f32_e32 v13, v12, v11
	v_fma_f32 v14, -v10, v13, v12
	v_fmac_f32_e32 v13, v14, v11
	v_fma_f32 v10, -v10, v13, v12
	v_div_fmas_f32 v10, v10, v11, v13
	v_div_fixup_f32 v4, v10, v4, 1.0
	v_mul_f32_e32 v10, v4, v4
	v_mov_b32_e32 v11, 0xbe06db67
	v_fmac_f32_e32 v11, 0, v10
	v_mov_b32_e32 v12, 0xbf205f75
	v_fmac_f32_e32 v12, v10, v11
	;; [unrolled: 2-line block ×18, first 2 shown]
	v_mul_f32_e32 v12, v6, v6
	v_mov_b32_e32 v15, 0x3c0881c4
	v_fmac_f32_e32 v17, 0x37d75334, v12
	v_mov_b32_e32 v18, 0x3d2aabf7
	v_fmac_f32_e32 v15, 0xb94c1982, v12
	v_mov_b32_e32 v16, 0xbe2aaa9d
	v_fma_f32 v17, v12, v17, v18
	v_mov_b32_e32 v19, 0xbf000004
	v_fma_f32 v15, v12, v15, v16
	v_fma_f32 v17, v12, v17, v19
	v_mul_f32_e32 v15, v12, v15
	v_fma_f32 v12, v12, v17, 1.0
	v_and_b32_e32 v17, 1, v5
	v_lshlrev_b32_e32 v5, 30, v5
	v_fmac_f32_e32 v6, v6, v15
	v_cmp_eq_u32_e32 vcc, 0, v17
	v_and_b32_e32 v5, 0x80000000, v5
	v_xor_b32_e32 v3, v3, v2
	v_cndmask_b32_e32 v6, v12, v6, vcc
	v_xor_b32_e32 v3, v3, v5
	v_mul_f32_e32 v5, v10, v13
	v_xor_b32_e32 v3, v3, v6
	v_div_scale_f32 v6, s[0:1], v11, v11, v5
	v_rcp_f32_e32 v12, v6
	s_movk_i32 s2, 0x1f8
	v_mov_b32_e32 v13, 0x7fc00000
	v_cmp_class_f32_e64 s[0:1], v2, s2
	v_cndmask_b32_e64 v2, v13, v3, s[0:1]
	v_fma_f32 v3, -v6, v12, 1.0
	v_fmac_f32_e32 v12, v3, v12
	v_div_scale_f32 v3, vcc, v5, v11, v5
	v_mul_f32_e32 v17, v3, v12
	v_fma_f32 v20, -v6, v17, v3
	v_fmac_f32_e32 v17, v20, v12
	v_fma_f32 v3, -v6, v17, v3
	v_div_fmas_f32 v3, v3, v12, v17
	v_div_fixup_f32 v3, v3, v11, v5
	v_mov_b32_e32 v5, 0x3ca1a92f
	v_fmac_f32_e32 v5, 0, v10
	v_mov_b32_e32 v6, 0x3ec83ea8
	v_fmac_f32_e32 v6, v10, v5
	;; [unrolled: 2-line block ×17, first 2 shown]
	v_mov_b32_e32 v6, 0x3b873823
	s_mov_b32 s2, 0xf800000
	v_fmac_f32_e32 v6, v10, v11
	v_mul_f32_e32 v11, 0x4f800000, v1
	v_cmp_gt_f32_e32 vcc, s2, v1
	v_cndmask_b32_e32 v1, v1, v11, vcc
	v_sqrt_f32_e32 v11, v1
	s_mov_b32 s6, 0x3f106ebb
	v_mov_b32_e32 v12, 0x38d45b0f
	v_fmac_f32_e32 v12, v10, v6
	v_add_u32_e32 v17, -1, v11
	v_fma_f32 v20, -v17, v11, v1
	v_cmp_ge_f32_e64 s[2:3], 0, v20
	v_add_u32_e32 v20, 1, v11
	v_cndmask_b32_e64 v17, v11, v17, s[2:3]
	v_fma_f32 v11, -v20, v11, v1
	v_cmp_lt_f32_e64 s[2:3], 0, v11
	v_cndmask_b32_e64 v11, v17, v20, s[2:3]
	v_mul_f32_e32 v17, 0x37800000, v11
	v_cndmask_b32_e32 v11, v11, v17, vcc
	v_mov_b32_e32 v17, 0x260
	v_cmp_class_f32_e32 vcc, v1, v17
	v_cndmask_b32_e32 v1, v11, v1, vcc
	v_div_scale_f32 v11, s[2:3], v1, v1, s6
	v_rcp_f32_e32 v17, v11
	v_mov_b32_e32 v6, 0x359d422f
	v_fmac_f32_e32 v6, v10, v12
	v_mov_b32_e32 v12, 0x31a8fe3a
	v_fmac_f32_e32 v12, v10, v6
	v_fma_f32 v6, -v11, v17, 1.0
	v_fmac_f32_e32 v17, v6, v17
	v_div_scale_f32 v6, vcc, s6, v1, s6
	v_mul_f32_e32 v10, v6, v17
	v_fma_f32 v20, -v11, v10, v6
	v_fmac_f32_e32 v10, v20, v17
	v_fma_f32 v6, -v11, v10, v6
	v_div_fmas_f32 v6, v6, v17, v10
	v_mov_b32_e32 v14, 0x3c0881c4
	v_div_fixup_f32 v1, v6, v1, s6
	v_mul_f32_e32 v6, v9, v9
	v_mov_b32_e32 v15, 0xbab64f3b
	v_fmac_f32_e32 v14, 0xb94c1982, v6
	v_fmac_f32_e32 v16, v6, v14
	;; [unrolled: 1-line block ×3, first 2 shown]
	v_mul_f32_e32 v10, v6, v16
	v_fmac_f32_e32 v18, v6, v15
	v_fmac_f32_e32 v9, v9, v10
	;; [unrolled: 1-line block ×3, first 2 shown]
	v_and_b32_e32 v10, 1, v7
	v_mul_f32_e32 v4, v4, v5
	v_fma_f32 v6, v6, v19, 1.0
	v_cmp_eq_u32_e32 vcc, 0, v10
	v_div_scale_f32 v5, s[2:3], v12, v12, v4
	v_cndmask_b32_e64 v6, -v9, v6, vcc
	v_rcp_f32_e32 v9, v5
	v_lshlrev_b32_e32 v7, 30, v7
	v_and_b32_e32 v7, 0x80000000, v7
	v_xor_b32_e32 v6, v7, v6
	v_fma_f32 v7, -v5, v9, 1.0
	v_fmac_f32_e32 v9, v7, v9
	v_div_scale_f32 v7, vcc, v4, v12, v4
	v_mul_f32_e32 v10, v7, v9
	v_fma_f32 v11, -v5, v10, v7
	v_fmac_f32_e32 v10, v11, v9
	v_fma_f32 v5, -v5, v10, v7
	v_div_fmas_f32 v5, v5, v9, v10
	v_cndmask_b32_e64 v6, v13, v6, s[0:1]
	v_div_fixup_f32 v4, v5, v12, v4
	v_add_f32_e32 v3, 1.0, v3
	v_mul_f32_e32 v4, v4, v6
	v_fma_f32 v2, v3, v2, -v4
	v_mul_f32_e32 v1, v1, v2
.LBB19_216:
	s_or_b64 exec, exec, s[12:13]
.LBB19_217:
	s_or_b64 exec, exec, s[10:11]
.LBB19_218:
	s_or_b64 exec, exec, s[8:9]
	v_add_u32_e32 v8, 0x80, v8
	global_store_dword v0, v1, s[24:25]
	s_or_b64 exec, exec, s[50:51]
	v_cmp_gt_i32_e32 vcc, s57, v8
	s_and_saveexec_b64 s[50:51], vcc
	s_cbranch_execnz .LBB19_17
.LBB19_219:
	s_or_b64 exec, exec, s[50:51]
	v_cmp_gt_i32_e32 vcc, s57, v8
	s_and_saveexec_b64 s[50:51], vcc
	s_cbranch_execz .LBB19_254
.LBB19_220:
	s_andn2_b64 vcc, exec, s[34:35]
	s_cbranch_vccnz .LBB19_226
; %bb.221:
	s_mov_b32 s6, 0
	s_andn2_b64 vcc, exec, s[48:49]
	v_mov_b32_e32 v2, 0
	v_mov_b32_e32 v0, 0
	s_cbranch_vccnz .LBB19_232
; %bb.222:
	s_add_i32 s59, s58, 1
	s_cmp_eq_u32 s56, 2
	s_cbranch_scc1 .LBB19_227
; %bb.223:
	s_and_b32 s6, s59, 28
	s_mov_b32 s7, 0
	v_mov_b32_e32 v0, 0
	s_mov_b64 s[52:53], s[4:5]
	s_mov_b64 s[54:55], s[46:47]
	v_mov_b32_e32 v3, v8
	v_mov_b32_e32 v2, 0
.LBB19_224:                             ; =>This Inner Loop Header: Depth=1
	s_load_dwordx8 s[16:23], s[52:53], 0x4
	s_load_dwordx4 s[0:3], s[52:53], 0x24
	s_load_dwordx8 s[8:15], s[54:55], 0x0
	s_add_u32 s52, s52, 48
	s_addc_u32 s53, s53, 0
	s_waitcnt lgkmcnt(0)
	v_mul_hi_u32 v1, s17, v3
	v_add_u32_e32 v1, v3, v1
	v_lshrrev_b32_e32 v1, s18, v1
	v_mul_lo_u32 v4, v1, s16
	v_mul_hi_u32 v5, s20, v1
	v_sub_u32_e32 v3, v3, v4
	v_add_u32_e32 v4, v1, v5
	v_lshrrev_b32_e32 v4, s21, v4
	v_mul_lo_u32 v6, v4, s19
	v_mul_hi_u32 v7, s23, v4
	v_sub_u32_e32 v1, v1, v6
	v_add_u32_e32 v6, v4, v7
	v_mul_lo_u32 v5, v3, s9
	v_mul_lo_u32 v3, v3, s8
	;; [unrolled: 1-line block ×4, first 2 shown]
	v_lshrrev_b32_e32 v6, s0, v6
	v_add3_u32 v0, v3, v0, v1
	v_mul_hi_u32 v3, s2, v6
	v_add_u32_e32 v3, v6, v3
	v_lshrrev_b32_e32 v3, s3, v3
	s_add_i32 s7, s7, 4
	v_add3_u32 v1, v5, v2, v7
	v_mul_lo_u32 v2, v6, s22
	v_mul_lo_u32 v5, v3, s1
	s_add_u32 s54, s54, 32
	v_sub_u32_e32 v2, v4, v2
	v_sub_u32_e32 v5, v6, v5
	s_addc_u32 s55, s55, 0
	v_mul_lo_u32 v4, v2, s12
	v_mul_lo_u32 v2, v2, s13
	;; [unrolled: 1-line block ×4, first 2 shown]
	s_cmp_eq_u32 s6, s7
	v_add3_u32 v2, v2, v1, v5
	v_add3_u32 v0, v4, v0, v6
	s_cbranch_scc0 .LBB19_224
; %bb.225:
	v_mov_b32_e32 v1, v2
	s_branch .LBB19_228
.LBB19_226:
                                        ; implicit-def: $vgpr2
                                        ; implicit-def: $vgpr0
	s_branch .LBB19_233
.LBB19_227:
	s_mov_b32 s7, s6
	v_pk_mov_b32 v[0:1], s[6:7], s[6:7] op_sel:[0,1]
                                        ; implicit-def: $vgpr2
	v_mov_b32_e32 v3, v8
.LBB19_228:
	s_and_b32 s7, s59, 3
	s_cmp_eq_u32 s7, 0
	s_cbranch_scc1 .LBB19_232
; %bb.229:
	s_lshl_b32 s0, s6, 3
	s_add_u32 s0, s0, s4
	s_addc_u32 s1, s5, 0
	s_add_u32 s0, s0, 0xc4
	s_addc_u32 s1, s1, 0
	s_mul_i32 s2, s6, 12
	s_add_u32 s2, s4, s2
	s_addc_u32 s3, s5, 0
.LBB19_230:                             ; =>This Inner Loop Header: Depth=1
	s_load_dwordx2 s[8:9], s[2:3], 0x4
	s_load_dword s6, s[2:3], 0xc
	s_load_dwordx2 s[10:11], s[0:1], 0x0
	v_mov_b32_e32 v2, v1
	s_add_u32 s2, s2, 12
	s_waitcnt lgkmcnt(0)
	v_mul_hi_u32 v1, s9, v3
	v_add_u32_e32 v1, v3, v1
	v_lshrrev_b32_e32 v1, s6, v1
	s_addc_u32 s3, s3, 0
	v_mul_lo_u32 v4, v1, s8
	s_add_u32 s0, s0, 8
	v_sub_u32_e32 v6, v3, v4
	v_mov_b32_e32 v3, v1
	s_addc_u32 s1, s1, 0
	s_add_i32 s7, s7, -1
	v_mad_u64_u32 v[4:5], s[8:9], v6, s11, v[2:3]
	v_mad_u64_u32 v[0:1], s[8:9], v6, s10, v[0:1]
	s_cmp_lg_u32 s7, 0
	v_mov_b32_e32 v1, v4
	s_cbranch_scc1 .LBB19_230
; %bb.231:
	v_mov_b32_e32 v2, v1
.LBB19_232:
	s_cbranch_execnz .LBB19_235
.LBB19_233:
	s_waitcnt lgkmcnt(0)
	v_mul_hi_u32 v0, s37, v8
	v_add_u32_e32 v0, v8, v0
	v_lshrrev_b32_e32 v1, s38, v0
	v_mul_lo_u32 v0, v1, s36
	v_sub_u32_e32 v0, v8, v0
	v_mul_lo_u32 v2, v0, s29
	s_andn2_b64 vcc, exec, s[44:45]
	v_mul_lo_u32 v0, v0, s28
	s_cbranch_vccnz .LBB19_235
; %bb.234:
	v_mul_hi_u32 v3, s42, v1
	v_add_u32_e32 v3, v1, v3
	v_lshrrev_b32_e32 v3, s43, v3
	v_mul_lo_u32 v3, v3, s39
	v_sub_u32_e32 v3, v1, v3
	v_mad_u64_u32 v[0:1], s[0:1], v3, s30, v[0:1]
	v_mad_u64_u32 v[2:3], s[0:1], v3, s31, v[2:3]
.LBB19_235:
	s_waitcnt lgkmcnt(0)
	global_load_dword v3, v2, s[26:27]
	s_mov_b32 s0, 0x7f800000
	v_mov_b32_e32 v1, 0x7fc00000
	s_waitcnt vmcnt(0)
	v_cmp_neq_f32_e64 s[0:1], |v3|, s0
	s_and_saveexec_b64 s[8:9], s[0:1]
	s_cbranch_execz .LBB19_266
; %bb.236:
	s_mov_b32 s0, 0x42cfc8b4
	v_cmp_nlt_f32_e32 vcc, s0, v3
	v_mov_b32_e32 v1, 0
	s_and_saveexec_b64 s[10:11], vcc
	s_cbranch_execz .LBB19_265
; %bb.237:
	s_mov_b32 s0, 0xc005c28f
	v_cmp_ngt_f32_e32 vcc, s0, v3
                                        ; implicit-def: $vgpr1
	s_and_saveexec_b64 s[0:1], vcc
	s_xor_b64 s[2:3], exec, s[0:1]
	s_cbranch_execz .LBB19_245
; %bb.238:
	s_mov_b32 s0, 0x4005c28f
	v_cmp_nle_f32_e64 s[6:7], s0, v3
	v_cmp_le_f32_e32 vcc, s0, v3
	v_mov_b32_e32 v1, 0
	s_mov_b64 s[0:1], s[6:7]
	s_and_saveexec_b64 s[12:13], vcc
	s_cbranch_execz .LBB19_240
; %bb.239:
	s_mov_b32 s14, 0xf800000
	v_mul_f32_e32 v1, 0x4f800000, v3
	v_cmp_gt_f32_e32 vcc, s14, v3
	v_cndmask_b32_e32 v1, v3, v1, vcc
	v_sqrt_f32_e32 v2, v1
	v_add_f32_e32 v4, v3, v3
	s_mov_b32 s15, 0x40400000
	v_add_u32_e32 v5, -1, v2
	v_fma_f32 v6, -v5, v2, v1
	v_cmp_ge_f32_e64 s[0:1], 0, v6
	v_add_u32_e32 v6, 1, v2
	v_cndmask_b32_e64 v5, v2, v5, s[0:1]
	v_fma_f32 v2, -v6, v2, v1
	v_cmp_lt_f32_e64 s[0:1], 0, v2
	v_cndmask_b32_e64 v2, v5, v6, s[0:1]
	v_mul_f32_e32 v5, 0x37800000, v2
	v_cndmask_b32_e32 v2, v2, v5, vcc
	v_mov_b32_e32 v5, 0x260
	v_cmp_class_f32_e32 vcc, v1, v5
	v_cndmask_b32_e32 v1, v2, v1, vcc
	v_mul_f32_e32 v2, v4, v1
	v_div_scale_f32 v4, s[0:1], s15, s15, v2
	v_rcp_f32_e32 v6, v4
	v_fma_f32 v7, -v4, v6, 1.0
	v_fmac_f32_e32 v6, v7, v6
	v_div_scale_f32 v7, vcc, v2, s15, v2
	v_mul_f32_e32 v9, v7, v6
	v_fma_f32 v10, -v4, v9, v7
	v_fmac_f32_e32 v9, v10, v6
	v_fma_f32 v4, -v4, v9, v7
	v_div_fmas_f32 v4, v4, v6, v9
	v_div_fixup_f32 v2, v4, s15, v2
	v_div_scale_f32 v4, s[0:1], v2, v2, 1.0
	v_rcp_f32_e32 v6, v4
	v_fma_f32 v7, -v4, v6, 1.0
	v_fmac_f32_e32 v6, v7, v6
	v_div_scale_f32 v7, vcc, 1.0, v2, 1.0
	v_mul_f32_e32 v9, v7, v6
	v_fma_f32 v10, -v4, v9, v7
	v_fmac_f32_e32 v9, v10, v6
	v_fma_f32 v4, -v4, v9, v7
	v_div_fmas_f32 v4, v4, v6, v9
	v_div_fixup_f32 v4, v4, v2, 1.0
	v_mov_b32_e32 v6, 0x3eb16d71
	v_fmac_f32_e32 v6, 0, v4
	v_mov_b32_e32 v7, 0x41401f1c
	v_fmac_f32_e32 v7, v4, v6
	;; [unrolled: 2-line block ×14, first 2 shown]
	v_fma_f32 v7, v4, v7, 1.0
	v_fma_f32 v4, v4, v6, 1.0
	v_div_scale_f32 v6, s[0:1], v7, v7, v4
	v_rcp_f32_e32 v9, v6
	v_cmp_gt_f32_e64 s[0:1], s14, v1
	v_fma_f32 v10, -v6, v9, 1.0
	v_fmac_f32_e32 v9, v10, v9
	v_div_scale_f32 v10, vcc, v4, v7, v4
	v_mul_f32_e32 v11, v10, v9
	v_fma_f32 v12, -v6, v11, v10
	v_fmac_f32_e32 v11, v12, v9
	v_fma_f32 v6, -v6, v11, v10
	v_mul_f32_e32 v10, 0x4f800000, v1
	v_cndmask_b32_e64 v1, v1, v10, s[0:1]
	v_sqrt_f32_e32 v10, v1
	v_div_fmas_f32 v6, v6, v9, v11
	v_div_fixup_f32 v4, v6, v7, v4
	v_add_u32_e32 v6, -1, v10
	v_fma_f32 v7, -v6, v10, v1
	v_cmp_ge_f32_e32 vcc, 0, v7
	v_add_u32_e32 v7, 1, v10
	v_fma_f32 v9, -v7, v10, v1
	v_cndmask_b32_e32 v6, v10, v6, vcc
	v_cmp_lt_f32_e32 vcc, 0, v9
	v_cndmask_b32_e32 v6, v6, v7, vcc
	v_mul_f32_e32 v7, 0x37800000, v6
	v_cndmask_b32_e64 v6, v6, v7, s[0:1]
	v_cmp_class_f32_e32 vcc, v1, v5
	v_cndmask_b32_e32 v5, v6, v1, vcc
	s_mov_b32 s0, 0x3fb8aa3b
	v_mul_f32_e32 v1, 0x3fb8aa3b, v2
	v_fma_f32 v6, v2, s0, -v1
	v_rndne_f32_e32 v7, v1
	v_fmac_f32_e32 v6, 0x32a5705f, v2
	v_sub_f32_e32 v1, v1, v7
	v_add_f32_e32 v1, v1, v6
	v_exp_f32_e32 v1, v1
	v_cvt_i32_f32_e32 v6, v7
	s_mov_b32 s0, 0x3f106ebb
	s_mov_b32 s1, 2.0
	v_pk_mul_f32 v[4:5], v[4:5], s[0:1]
	s_mov_b32 s0, 0xc2ce8ed0
	v_ldexp_f32 v1, v1, v6
	v_cmp_ngt_f32_e32 vcc, s0, v2
	s_mov_b32 s0, 0x42b17218
	v_cndmask_b32_e32 v1, 0, v1, vcc
	v_mov_b32_e32 v6, 0x7f800000
	v_cmp_nlt_f32_e32 vcc, s0, v2
	v_cndmask_b32_e32 v1, v6, v1, vcc
	v_mul_f32_e32 v1, v5, v1
	v_div_scale_f32 v2, s[0:1], v1, v1, v4
	v_rcp_f32_e32 v5, v2
	s_mov_b32 s0, 0x41052018
	v_fma_f32 v6, -v2, v5, 1.0
	v_fmac_f32_e32 v5, v6, v5
	v_div_scale_f32 v6, vcc, v4, v1, v4
	v_mul_f32_e32 v7, v6, v5
	v_fma_f32 v9, -v2, v7, v6
	v_fmac_f32_e32 v7, v9, v5
	v_fma_f32 v2, -v2, v7, v6
	v_div_fmas_f32 v2, v2, v5, v7
	v_cmp_nlt_f32_e32 vcc, s0, v3
	s_andn2_b64 s[0:1], s[6:7], exec
	s_and_b64 s[14:15], vcc, exec
	v_div_fixup_f32 v1, v2, v1, v4
	s_or_b64 s[0:1], s[0:1], s[14:15]
.LBB19_240:
	s_or_b64 exec, exec, s[12:13]
	s_and_saveexec_b64 s[12:13], s[0:1]
	s_cbranch_execz .LBB19_244
; %bb.241:
	v_mul_f32_e32 v2, v3, v3
	v_mul_f32_e32 v4, v3, v2
	v_mov_b32_e32 v9, 1.0
	v_mov_b32_e32 v5, v4
	s_mov_b64 s[14:15], 0
	s_brev_b32 s16, 44
	v_mov_b32_e32 v2, v9
	v_mov_b32_e32 v6, 1.0
	v_mov_b32_e32 v7, v3
.LBB19_242:                             ; =>This Inner Loop Header: Depth=1
	v_pk_mul_f32 v[6:7], v[4:5], v[6:7]
	v_add_f32_e32 v10, 1.0, v9
	v_add_f32_e32 v11, 1.0, v10
	v_div_scale_f32 v12, s[0:1], v10, v10, v6
	v_rcp_f32_e32 v14, v12
	v_div_scale_f32 v15, s[0:1], v11, v11, v7
	v_rcp_f32_e32 v17, v15
	v_fma_f32 v18, -v12, v14, 1.0
	v_div_scale_f32 v13, vcc, v6, v10, v6
	v_fmac_f32_e32 v14, v18, v14
	v_fma_f32 v18, -v15, v17, 1.0
	v_div_scale_f32 v16, s[0:1], v7, v11, v7
	v_mul_f32_e32 v19, v13, v14
	v_fmac_f32_e32 v17, v18, v17
	v_fma_f32 v18, -v12, v19, v13
	v_mul_f32_e32 v20, v16, v17
	v_fmac_f32_e32 v19, v18, v14
	v_fma_f32 v18, -v15, v20, v16
	v_fma_f32 v12, -v12, v19, v13
	v_fmac_f32_e32 v20, v18, v17
	v_div_fmas_f32 v12, v12, v14, v19
	v_fma_f32 v13, -v15, v20, v16
	s_mov_b64 vcc, s[0:1]
	v_div_fixup_f32 v6, v12, v10, v6
	v_div_fmas_f32 v10, v13, v17, v20
	v_add_f32_e32 v9, 1.0, v11
	v_div_fixup_f32 v7, v10, v11, v7
	v_div_scale_f32 v10, s[0:1], v11, v11, v6
	v_div_scale_f32 v13, s[18:19], v9, v9, v7
	v_rcp_f32_e32 v15, v10
	v_rcp_f32_e32 v16, v13
	v_div_scale_f32 v12, s[0:1], v6, v11, v6
	v_fma_f32 v17, -v10, v15, 1.0
	v_fma_f32 v18, -v13, v16, 1.0
	v_div_scale_f32 v14, vcc, v7, v9, v7
	v_fmac_f32_e32 v15, v17, v15
	v_fmac_f32_e32 v16, v18, v16
	v_mul_f32_e32 v17, v12, v15
	v_mul_f32_e32 v18, v14, v16
	v_fma_f32 v19, -v10, v17, v12
	v_fma_f32 v20, -v13, v18, v14
	v_fmac_f32_e32 v17, v19, v15
	v_fmac_f32_e32 v18, v20, v16
	v_fma_f32 v10, -v10, v17, v12
	v_fma_f32 v12, -v13, v18, v14
	v_div_fmas_f32 v12, v12, v16, v18
	s_mov_b64 vcc, s[0:1]
	v_div_fmas_f32 v10, v10, v15, v17
	v_div_fixup_f32 v7, v12, v9, v7
	v_div_fixup_f32 v6, v10, v11, v6
	v_pk_add_f32 v[2:3], v[2:3], v[6:7]
	v_div_scale_f32 v10, s[0:1], v2, v2, v6
	v_rcp_f32_e32 v11, v10
	v_div_scale_f32 v12, vcc, v6, v2, v6
	v_fma_f32 v13, -v10, v11, 1.0
	v_fmac_f32_e32 v11, v13, v11
	v_mul_f32_e32 v13, v12, v11
	v_fma_f32 v14, -v10, v13, v12
	v_fmac_f32_e32 v13, v14, v11
	v_fma_f32 v10, -v10, v13, v12
	v_div_fmas_f32 v10, v10, v11, v13
	v_div_fixup_f32 v10, v10, v2, v6
	v_cmp_ngt_f32_e64 s[0:1], |v10|, s16
	s_or_b64 s[14:15], s[0:1], s[14:15]
	s_andn2_b64 exec, exec, s[14:15]
	s_cbranch_execnz .LBB19_242
; %bb.243:
	s_or_b64 exec, exec, s[14:15]
	s_mov_b32 s0, 0x3eb5c63d
	s_mov_b32 s1, 0x3e8483fa
	v_pk_mul_f32 v[2:3], v[2:3], s[0:1]
	v_sub_f32_e32 v2, v2, v3
	v_cndmask_b32_e64 v1, v1, v2, s[6:7]
.LBB19_244:
	s_or_b64 exec, exec, s[12:13]
                                        ; implicit-def: $vgpr3
.LBB19_245:
	s_andn2_saveexec_b64 s[12:13], s[2:3]
	s_cbranch_execz .LBB19_264
; %bb.246:
	s_mov_b32 s0, 0x8f800000
	v_mul_f32_e32 v1, 0xcf800000, v3
	v_cmp_lt_f32_e32 vcc, s0, v3
	v_cndmask_b32_e64 v1, -v3, v1, vcc
	v_sqrt_f32_e32 v2, v1
	v_mul_f32_e32 v3, -2.0, v3
	s_mov_b32 s2, 0x40400000
	v_add_u32_e32 v4, -1, v2
	v_fma_f32 v5, -v4, v2, v1
	v_cmp_ge_f32_e64 s[0:1], 0, v5
	v_add_u32_e32 v5, 1, v2
	v_cndmask_b32_e64 v4, v2, v4, s[0:1]
	v_fma_f32 v2, -v5, v2, v1
	v_cmp_lt_f32_e64 s[0:1], 0, v2
	v_cndmask_b32_e64 v2, v4, v5, s[0:1]
	v_mul_f32_e32 v4, 0x37800000, v2
	v_cndmask_b32_e32 v2, v2, v4, vcc
	v_mov_b32_e32 v4, 0x260
	v_cmp_class_f32_e32 vcc, v1, v4
	v_cndmask_b32_e32 v1, v2, v1, vcc
	v_mul_f32_e32 v2, v3, v1
	v_div_scale_f32 v3, s[0:1], s2, s2, v2
	v_rcp_f32_e32 v4, v3
	s_brev_b32 s0, 18
	v_fma_f32 v5, -v3, v4, 1.0
	v_fmac_f32_e32 v4, v5, v4
	v_div_scale_f32 v5, vcc, v2, s2, v2
	v_mul_f32_e32 v6, v5, v4
	v_fma_f32 v7, -v3, v6, v5
	v_fmac_f32_e32 v6, v7, v4
	v_fma_f32 v3, -v3, v6, v5
	v_div_fmas_f32 v3, v3, v4, v6
	v_div_fixup_f32 v4, v3, s2, v2
	v_add_f32_e32 v2, 0x3f490fdb, v4
	v_and_b32_e32 v3, 0x7fffffff, v2
	v_cmp_nlt_f32_e64 s[14:15], |v2|, s0
                                        ; implicit-def: $vgpr5
                                        ; implicit-def: $vgpr6
	s_and_saveexec_b64 s[0:1], s[14:15]
	s_xor_b64 s[16:17], exec, s[0:1]
	s_cbranch_execz .LBB19_257
; %bb.247:
	v_lshrrev_b32_e32 v5, 23, v3
	v_add_u32_e32 v5, 0xffffff88, v5
	v_not_b32_e32 v6, 63
	v_cmp_lt_u32_e32 vcc, 63, v5
	v_cndmask_b32_e32 v6, 0, v6, vcc
	v_add_u32_e32 v5, v6, v5
	v_not_b32_e32 v6, 31
	v_cmp_lt_u32_e64 s[0:1], 31, v5
	v_cndmask_b32_e64 v9, 0, v6, s[0:1]
	v_add_u32_e32 v5, v9, v5
	v_cmp_lt_u32_e64 s[2:3], 31, v5
	v_cndmask_b32_e64 v6, 0, v6, s[2:3]
	v_add_u32_e32 v5, v6, v5
	v_and_b32_e32 v6, 0x7fffff, v3
	v_or_b32_e32 v9, 0x800000, v6
	s_mov_b32 s6, 0xfe5163ab
	v_mad_u64_u32 v[10:11], s[6:7], v9, s6, 0
	v_mov_b32_e32 v7, 0
	v_mov_b32_e32 v6, v11
	s_mov_b32 s6, 0x3c439041
	v_mad_u64_u32 v[12:13], s[6:7], v9, s6, v[6:7]
	v_mov_b32_e32 v6, v13
	s_mov_b32 s6, 0xdb629599
	v_mad_u64_u32 v[14:15], s[6:7], v9, s6, v[6:7]
	;; [unrolled: 3-line block ×6, first 2 shown]
	v_cndmask_b32_e32 v11, v20, v16, vcc
	v_cndmask_b32_e32 v6, v6, v18, vcc
	;; [unrolled: 1-line block ×3, first 2 shown]
	v_cndmask_b32_e64 v9, v6, v11, s[0:1]
	v_cndmask_b32_e64 v6, v7, v6, s[0:1]
	v_cndmask_b32_e32 v7, v18, v14, vcc
	v_cndmask_b32_e64 v11, v11, v7, s[0:1]
	v_cndmask_b32_e64 v6, v6, v9, s[2:3]
	v_cndmask_b32_e64 v9, v9, v11, s[2:3]
	v_sub_u32_e32 v13, 32, v5
	v_alignbit_b32 v15, v6, v9, v13
	v_cmp_eq_u32_e64 s[6:7], 0, v5
	v_cndmask_b32_e64 v5, v15, v6, s[6:7]
	v_cndmask_b32_e32 v6, v16, v12, vcc
	v_cndmask_b32_e64 v7, v7, v6, s[0:1]
	v_cndmask_b32_e64 v11, v11, v7, s[2:3]
	v_alignbit_b32 v12, v9, v11, v13
	v_cndmask_b32_e64 v9, v12, v9, s[6:7]
	v_bfe_u32 v16, v5, 29, 1
	v_cndmask_b32_e32 v10, v14, v10, vcc
	v_alignbit_b32 v12, v5, v9, 30
	v_sub_u32_e32 v17, 0, v16
	v_cndmask_b32_e64 v6, v6, v10, s[0:1]
	v_xor_b32_e32 v18, v12, v17
	v_cndmask_b32_e64 v6, v7, v6, s[2:3]
	v_alignbit_b32 v7, v11, v6, v13
	v_ffbh_u32_e32 v10, v18
	v_cndmask_b32_e64 v7, v7, v11, s[6:7]
	v_add_u32_e32 v10, 1, v10
	v_cmp_ne_u32_e32 vcc, v12, v17
	v_alignbit_b32 v9, v9, v7, 30
	v_cndmask_b32_e32 v10, 33, v10, vcc
	v_alignbit_b32 v6, v7, v6, 30
	v_xor_b32_e32 v9, v9, v17
	v_sub_u32_e32 v11, 32, v10
	v_xor_b32_e32 v6, v6, v17
	v_alignbit_b32 v12, v18, v9, v11
	v_alignbit_b32 v6, v9, v6, v11
	;; [unrolled: 1-line block ×3, first 2 shown]
	v_ffbh_u32_e32 v9, v7
	v_min_u32_e32 v9, 32, v9
	v_lshrrev_b32_e32 v15, 29, v5
	v_sub_u32_e32 v11, 31, v9
	v_alignbit_b32 v6, v7, v6, v11
	v_lshlrev_b32_e32 v7, 31, v15
	v_or_b32_e32 v11, 0x33800000, v7
	v_add_lshl_u32 v9, v9, v10, 23
	v_lshrrev_b32_e32 v6, 9, v6
	v_sub_u32_e32 v9, v11, v9
	v_or_b32_e32 v6, v9, v6
	v_alignbit_b32 v9, v10, v12, 9
	v_or_b32_e32 v7, v9, v7
	v_xor_b32_e32 v7, 1.0, v7
	s_mov_b32 s0, 0x3fc90fda
	v_mul_f32_e32 v9, 0x3fc90fda, v7
	v_fma_f32 v10, v7, s0, -v9
	v_fmac_f32_e32 v10, 0x33a22168, v7
	v_fmac_f32_e32 v10, 0x3fc90fda, v6
	v_lshrrev_b32_e32 v5, 30, v5
	v_add_f32_e32 v6, v9, v10
	v_add_u32_e32 v5, v16, v5
	s_andn2_saveexec_b64 s[0:1], s[16:17]
	s_branch .LBB19_258
.LBB19_248:
	s_andn2_saveexec_b64 s[0:1], s[14:15]
.LBB19_249:
	s_mov_b32 s2, 0x3f22f983
	v_mul_f32_e64 v7, |v2|, s2
	v_rndne_f32_e32 v10, v7
	s_mov_b32 s2, 0xbfc90fda
	v_cvt_i32_f32_e32 v7, v10
	v_fma_f32 v9, v10, s2, |v2|
	v_fmac_f32_e32 v9, 0xb3a22168, v10
	v_fmac_f32_e32 v9, 0xa7c234c4, v10
.LBB19_250:
	s_or_b64 exec, exec, s[0:1]
	v_div_scale_f32 v10, s[0:1], v4, v4, 1.0
	v_rcp_f32_e32 v11, v10
	v_div_scale_f32 v12, vcc, 1.0, v4, 1.0
	v_mov_b32_e32 v17, 0xbab64f3b
	v_fma_f32 v13, -v10, v11, 1.0
	v_fmac_f32_e32 v11, v13, v11
	v_mul_f32_e32 v13, v12, v11
	v_fma_f32 v14, -v10, v13, v12
	v_fmac_f32_e32 v13, v14, v11
	v_fma_f32 v10, -v10, v13, v12
	v_div_fmas_f32 v10, v10, v11, v13
	v_div_fixup_f32 v4, v10, v4, 1.0
	v_mul_f32_e32 v10, v4, v4
	v_mov_b32_e32 v11, 0xbe06db67
	v_fmac_f32_e32 v11, 0, v10
	v_mov_b32_e32 v12, 0xbf205f75
	v_fmac_f32_e32 v12, v10, v11
	;; [unrolled: 2-line block ×18, first 2 shown]
	v_mul_f32_e32 v12, v6, v6
	v_mov_b32_e32 v15, 0x3c0881c4
	v_fmac_f32_e32 v17, 0x37d75334, v12
	v_mov_b32_e32 v18, 0x3d2aabf7
	v_fmac_f32_e32 v15, 0xb94c1982, v12
	v_mov_b32_e32 v16, 0xbe2aaa9d
	v_fma_f32 v17, v12, v17, v18
	v_mov_b32_e32 v19, 0xbf000004
	v_fma_f32 v15, v12, v15, v16
	v_fma_f32 v17, v12, v17, v19
	v_mul_f32_e32 v15, v12, v15
	v_fma_f32 v12, v12, v17, 1.0
	v_and_b32_e32 v17, 1, v5
	v_lshlrev_b32_e32 v5, 30, v5
	v_fmac_f32_e32 v6, v6, v15
	v_cmp_eq_u32_e32 vcc, 0, v17
	v_and_b32_e32 v5, 0x80000000, v5
	v_xor_b32_e32 v3, v3, v2
	v_cndmask_b32_e32 v6, v12, v6, vcc
	v_xor_b32_e32 v3, v3, v5
	v_mul_f32_e32 v5, v10, v13
	v_xor_b32_e32 v3, v3, v6
	v_div_scale_f32 v6, s[0:1], v11, v11, v5
	v_rcp_f32_e32 v12, v6
	s_movk_i32 s2, 0x1f8
	v_mov_b32_e32 v13, 0x7fc00000
	v_cmp_class_f32_e64 s[0:1], v2, s2
	v_cndmask_b32_e64 v2, v13, v3, s[0:1]
	v_fma_f32 v3, -v6, v12, 1.0
	v_fmac_f32_e32 v12, v3, v12
	v_div_scale_f32 v3, vcc, v5, v11, v5
	v_mul_f32_e32 v17, v3, v12
	v_fma_f32 v20, -v6, v17, v3
	v_fmac_f32_e32 v17, v20, v12
	v_fma_f32 v3, -v6, v17, v3
	v_div_fmas_f32 v3, v3, v12, v17
	v_div_fixup_f32 v3, v3, v11, v5
	v_mov_b32_e32 v5, 0x3ca1a92f
	v_fmac_f32_e32 v5, 0, v10
	v_mov_b32_e32 v6, 0x3ec83ea8
	v_fmac_f32_e32 v6, v10, v5
	;; [unrolled: 2-line block ×17, first 2 shown]
	v_mov_b32_e32 v6, 0x3b873823
	s_mov_b32 s2, 0xf800000
	v_fmac_f32_e32 v6, v10, v11
	v_mul_f32_e32 v11, 0x4f800000, v1
	v_cmp_gt_f32_e32 vcc, s2, v1
	v_cndmask_b32_e32 v1, v1, v11, vcc
	v_sqrt_f32_e32 v11, v1
	s_mov_b32 s6, 0x3f106ebb
	v_mov_b32_e32 v12, 0x38d45b0f
	v_fmac_f32_e32 v12, v10, v6
	v_add_u32_e32 v17, -1, v11
	v_fma_f32 v20, -v17, v11, v1
	v_cmp_ge_f32_e64 s[2:3], 0, v20
	v_add_u32_e32 v20, 1, v11
	v_cndmask_b32_e64 v17, v11, v17, s[2:3]
	v_fma_f32 v11, -v20, v11, v1
	v_cmp_lt_f32_e64 s[2:3], 0, v11
	v_cndmask_b32_e64 v11, v17, v20, s[2:3]
	v_mul_f32_e32 v17, 0x37800000, v11
	v_cndmask_b32_e32 v11, v11, v17, vcc
	v_mov_b32_e32 v17, 0x260
	v_cmp_class_f32_e32 vcc, v1, v17
	v_cndmask_b32_e32 v1, v11, v1, vcc
	v_div_scale_f32 v11, s[2:3], v1, v1, s6
	v_rcp_f32_e32 v17, v11
	v_mov_b32_e32 v6, 0x359d422f
	v_fmac_f32_e32 v6, v10, v12
	v_mov_b32_e32 v12, 0x31a8fe3a
	v_fmac_f32_e32 v12, v10, v6
	v_fma_f32 v6, -v11, v17, 1.0
	v_fmac_f32_e32 v17, v6, v17
	v_div_scale_f32 v6, vcc, s6, v1, s6
	v_mul_f32_e32 v10, v6, v17
	v_fma_f32 v20, -v11, v10, v6
	v_fmac_f32_e32 v10, v20, v17
	v_fma_f32 v6, -v11, v10, v6
	v_div_fmas_f32 v6, v6, v17, v10
	v_mov_b32_e32 v14, 0x3c0881c4
	v_div_fixup_f32 v1, v6, v1, s6
	v_mul_f32_e32 v6, v9, v9
	v_mov_b32_e32 v15, 0xbab64f3b
	v_fmac_f32_e32 v14, 0xb94c1982, v6
	v_fmac_f32_e32 v16, v6, v14
	;; [unrolled: 1-line block ×3, first 2 shown]
	v_mul_f32_e32 v10, v6, v16
	v_fmac_f32_e32 v18, v6, v15
	v_fmac_f32_e32 v9, v9, v10
	;; [unrolled: 1-line block ×3, first 2 shown]
	v_and_b32_e32 v10, 1, v7
	v_mul_f32_e32 v4, v4, v5
	v_fma_f32 v6, v6, v19, 1.0
	v_cmp_eq_u32_e32 vcc, 0, v10
	v_div_scale_f32 v5, s[2:3], v12, v12, v4
	v_cndmask_b32_e64 v6, -v9, v6, vcc
	v_rcp_f32_e32 v9, v5
	v_lshlrev_b32_e32 v7, 30, v7
	v_and_b32_e32 v7, 0x80000000, v7
	v_xor_b32_e32 v6, v7, v6
	v_fma_f32 v7, -v5, v9, 1.0
	v_fmac_f32_e32 v9, v7, v9
	v_div_scale_f32 v7, vcc, v4, v12, v4
	v_mul_f32_e32 v10, v7, v9
	v_fma_f32 v11, -v5, v10, v7
	v_fmac_f32_e32 v10, v11, v9
	v_fma_f32 v5, -v5, v10, v7
	v_div_fmas_f32 v5, v5, v9, v10
	v_cndmask_b32_e64 v6, v13, v6, s[0:1]
	v_div_fixup_f32 v4, v5, v12, v4
	v_add_f32_e32 v3, 1.0, v3
	v_mul_f32_e32 v4, v4, v6
	v_fma_f32 v2, v3, v2, -v4
	v_mul_f32_e32 v1, v1, v2
.LBB19_251:
	s_or_b64 exec, exec, s[12:13]
.LBB19_252:
	s_or_b64 exec, exec, s[10:11]
.LBB19_253:
	s_or_b64 exec, exec, s[8:9]
	v_add_u32_e32 v8, 0x80, v8
	global_store_dword v0, v1, s[24:25]
	s_or_b64 exec, exec, s[50:51]
	v_cmp_gt_i32_e32 vcc, s57, v8
	s_and_saveexec_b64 s[50:51], vcc
	s_cbranch_execnz .LBB19_220
.LBB19_254:
	s_or_b64 exec, exec, s[50:51]
	v_cmp_gt_i32_e32 vcc, s57, v8
	s_and_saveexec_b64 s[50:51], vcc
	s_cbranch_execnz .LBB19_267
.LBB19_255:
	s_or_b64 exec, exec, s[50:51]
                                        ; implicit-def: $vgpr9
                                        ; implicit-def: $vgpr8
	s_andn2_saveexec_b64 s[0:1], s[40:41]
	s_cbranch_execnz .LBB19_9
.LBB19_256:
	s_endpgm
.LBB19_257:
	s_andn2_saveexec_b64 s[0:1], s[16:17]
.LBB19_258:
	s_mov_b32 s2, 0x3f22f983
	v_mul_f32_e64 v5, |v2|, s2
	v_rndne_f32_e32 v7, v5
	s_mov_b32 s2, 0xbfc90fda
	v_cvt_i32_f32_e32 v5, v7
	v_fma_f32 v6, v7, s2, |v2|
	v_fmac_f32_e32 v6, 0xb3a22168, v7
	v_fmac_f32_e32 v6, 0xa7c234c4, v7
; %bb.259:
	s_or_b64 exec, exec, s[0:1]
                                        ; implicit-def: $vgpr7
                                        ; implicit-def: $vgpr9
	s_and_saveexec_b64 s[0:1], s[14:15]
	s_xor_b64 s[14:15], exec, s[0:1]
	s_cbranch_execz .LBB19_261
; %bb.260:
	v_lshrrev_b32_e32 v7, 23, v3
	v_add_u32_e32 v7, 0xffffff88, v7
	v_not_b32_e32 v9, 63
	v_cmp_lt_u32_e32 vcc, 63, v7
	v_cndmask_b32_e32 v9, 0, v9, vcc
	v_add_u32_e32 v7, v9, v7
	v_not_b32_e32 v9, 31
	v_cmp_lt_u32_e64 s[0:1], 31, v7
	v_cndmask_b32_e64 v10, 0, v9, s[0:1]
	v_add_u32_e32 v7, v10, v7
	v_cmp_lt_u32_e64 s[2:3], 31, v7
	v_cndmask_b32_e64 v9, 0, v9, s[2:3]
	v_add_u32_e32 v7, v9, v7
	v_and_b32_e32 v9, 0x7fffff, v3
	v_or_b32_e32 v9, 0x800000, v9
	s_mov_b32 s6, 0xfe5163ab
	v_mad_u64_u32 v[12:13], s[6:7], v9, s6, 0
	v_mov_b32_e32 v11, 0
	v_mov_b32_e32 v10, v13
	s_mov_b32 s6, 0x3c439041
	v_mad_u64_u32 v[14:15], s[6:7], v9, s6, v[10:11]
	v_mov_b32_e32 v10, v15
	s_mov_b32 s6, 0xdb629599
	v_mad_u64_u32 v[16:17], s[6:7], v9, s6, v[10:11]
	;; [unrolled: 3-line block ×6, first 2 shown]
	v_cndmask_b32_e32 v13, v22, v18, vcc
	v_cndmask_b32_e32 v9, v10, v20, vcc
	;; [unrolled: 1-line block ×3, first 2 shown]
	v_cndmask_b32_e64 v10, v9, v13, s[0:1]
	v_cndmask_b32_e64 v9, v11, v9, s[0:1]
	v_cndmask_b32_e32 v11, v20, v16, vcc
	v_cndmask_b32_e64 v13, v13, v11, s[0:1]
	v_cndmask_b32_e64 v9, v9, v10, s[2:3]
	;; [unrolled: 1-line block ×3, first 2 shown]
	v_sub_u32_e32 v15, 32, v7
	v_alignbit_b32 v17, v9, v10, v15
	v_cmp_eq_u32_e64 s[6:7], 0, v7
	v_cndmask_b32_e64 v7, v17, v9, s[6:7]
	v_cndmask_b32_e32 v9, v18, v14, vcc
	v_cndmask_b32_e64 v11, v11, v9, s[0:1]
	v_cndmask_b32_e64 v13, v13, v11, s[2:3]
	v_alignbit_b32 v14, v10, v13, v15
	v_cndmask_b32_e64 v10, v14, v10, s[6:7]
	v_bfe_u32 v18, v7, 29, 1
	v_cndmask_b32_e32 v12, v16, v12, vcc
	v_alignbit_b32 v14, v7, v10, 30
	v_sub_u32_e32 v19, 0, v18
	v_cndmask_b32_e64 v9, v9, v12, s[0:1]
	v_xor_b32_e32 v20, v14, v19
	v_cndmask_b32_e64 v9, v11, v9, s[2:3]
	v_alignbit_b32 v11, v13, v9, v15
	v_ffbh_u32_e32 v12, v20
	v_cndmask_b32_e64 v11, v11, v13, s[6:7]
	v_add_u32_e32 v12, 1, v12
	v_cmp_ne_u32_e32 vcc, v14, v19
	v_alignbit_b32 v10, v10, v11, 30
	v_cndmask_b32_e32 v12, 33, v12, vcc
	v_alignbit_b32 v9, v11, v9, 30
	v_xor_b32_e32 v10, v10, v19
	v_sub_u32_e32 v13, 32, v12
	v_xor_b32_e32 v9, v9, v19
	v_alignbit_b32 v14, v20, v10, v13
	v_alignbit_b32 v9, v10, v9, v13
	;; [unrolled: 1-line block ×3, first 2 shown]
	v_ffbh_u32_e32 v11, v10
	v_min_u32_e32 v11, 32, v11
	v_lshrrev_b32_e32 v17, 29, v7
	v_sub_u32_e32 v13, 31, v11
	v_alignbit_b32 v9, v10, v9, v13
	v_lshlrev_b32_e32 v10, 31, v17
	v_or_b32_e32 v13, 0x33800000, v10
	v_add_lshl_u32 v11, v11, v12, 23
	v_lshrrev_b32_e32 v9, 9, v9
	v_sub_u32_e32 v11, v13, v11
	v_or_b32_e32 v9, v11, v9
	v_alignbit_b32 v11, v12, v14, 9
	v_or_b32_e32 v10, v11, v10
	v_xor_b32_e32 v10, 1.0, v10
	s_mov_b32 s0, 0x3fc90fda
	v_mul_f32_e32 v11, 0x3fc90fda, v10
	v_fma_f32 v12, v10, s0, -v11
	v_fmac_f32_e32 v12, 0x33a22168, v10
	v_fmac_f32_e32 v12, 0x3fc90fda, v9
	v_lshrrev_b32_e32 v7, 30, v7
	v_add_f32_e32 v9, v11, v12
	v_add_u32_e32 v7, v18, v7
	s_andn2_saveexec_b64 s[0:1], s[14:15]
	s_cbranch_execnz .LBB19_262
	s_branch .LBB19_263
.LBB19_261:
	s_andn2_saveexec_b64 s[0:1], s[14:15]
.LBB19_262:
	s_mov_b32 s2, 0x3f22f983
	v_mul_f32_e64 v7, |v2|, s2
	v_rndne_f32_e32 v10, v7
	s_mov_b32 s2, 0xbfc90fda
	v_cvt_i32_f32_e32 v7, v10
	v_fma_f32 v9, v10, s2, |v2|
	v_fmac_f32_e32 v9, 0xb3a22168, v10
	v_fmac_f32_e32 v9, 0xa7c234c4, v10
.LBB19_263:
	s_or_b64 exec, exec, s[0:1]
	v_div_scale_f32 v10, s[0:1], v4, v4, 1.0
	v_rcp_f32_e32 v11, v10
	v_div_scale_f32 v12, vcc, 1.0, v4, 1.0
	v_mov_b32_e32 v17, 0xbab64f3b
	v_fma_f32 v13, -v10, v11, 1.0
	v_fmac_f32_e32 v11, v13, v11
	v_mul_f32_e32 v13, v12, v11
	v_fma_f32 v14, -v10, v13, v12
	v_fmac_f32_e32 v13, v14, v11
	v_fma_f32 v10, -v10, v13, v12
	v_div_fmas_f32 v10, v10, v11, v13
	v_div_fixup_f32 v4, v10, v4, 1.0
	v_mul_f32_e32 v10, v4, v4
	v_mov_b32_e32 v11, 0xbe06db67
	v_fmac_f32_e32 v11, 0, v10
	v_mov_b32_e32 v12, 0xbf205f75
	v_fmac_f32_e32 v12, v10, v11
	;; [unrolled: 2-line block ×18, first 2 shown]
	v_mul_f32_e32 v12, v6, v6
	v_mov_b32_e32 v15, 0x3c0881c4
	v_fmac_f32_e32 v17, 0x37d75334, v12
	v_mov_b32_e32 v18, 0x3d2aabf7
	v_fmac_f32_e32 v15, 0xb94c1982, v12
	v_mov_b32_e32 v16, 0xbe2aaa9d
	v_fma_f32 v17, v12, v17, v18
	v_mov_b32_e32 v19, 0xbf000004
	v_fma_f32 v15, v12, v15, v16
	v_fma_f32 v17, v12, v17, v19
	v_mul_f32_e32 v15, v12, v15
	v_fma_f32 v12, v12, v17, 1.0
	v_and_b32_e32 v17, 1, v5
	v_lshlrev_b32_e32 v5, 30, v5
	v_fmac_f32_e32 v6, v6, v15
	v_cmp_eq_u32_e32 vcc, 0, v17
	v_and_b32_e32 v5, 0x80000000, v5
	v_xor_b32_e32 v3, v3, v2
	v_cndmask_b32_e32 v6, v12, v6, vcc
	v_xor_b32_e32 v3, v3, v5
	v_mul_f32_e32 v5, v10, v13
	v_xor_b32_e32 v3, v3, v6
	v_div_scale_f32 v6, s[0:1], v11, v11, v5
	v_rcp_f32_e32 v12, v6
	s_movk_i32 s2, 0x1f8
	v_mov_b32_e32 v13, 0x7fc00000
	v_cmp_class_f32_e64 s[0:1], v2, s2
	v_cndmask_b32_e64 v2, v13, v3, s[0:1]
	v_fma_f32 v3, -v6, v12, 1.0
	v_fmac_f32_e32 v12, v3, v12
	v_div_scale_f32 v3, vcc, v5, v11, v5
	v_mul_f32_e32 v17, v3, v12
	v_fma_f32 v20, -v6, v17, v3
	v_fmac_f32_e32 v17, v20, v12
	v_fma_f32 v3, -v6, v17, v3
	v_div_fmas_f32 v3, v3, v12, v17
	v_div_fixup_f32 v3, v3, v11, v5
	v_mov_b32_e32 v5, 0x3ca1a92f
	v_fmac_f32_e32 v5, 0, v10
	v_mov_b32_e32 v6, 0x3ec83ea8
	v_fmac_f32_e32 v6, v10, v5
	;; [unrolled: 2-line block ×17, first 2 shown]
	v_mov_b32_e32 v6, 0x3b873823
	s_mov_b32 s2, 0xf800000
	v_fmac_f32_e32 v6, v10, v11
	v_mul_f32_e32 v11, 0x4f800000, v1
	v_cmp_gt_f32_e32 vcc, s2, v1
	v_cndmask_b32_e32 v1, v1, v11, vcc
	v_sqrt_f32_e32 v11, v1
	s_mov_b32 s6, 0x3f106ebb
	v_mov_b32_e32 v12, 0x38d45b0f
	v_fmac_f32_e32 v12, v10, v6
	v_add_u32_e32 v17, -1, v11
	v_fma_f32 v20, -v17, v11, v1
	v_cmp_ge_f32_e64 s[2:3], 0, v20
	v_add_u32_e32 v20, 1, v11
	v_cndmask_b32_e64 v17, v11, v17, s[2:3]
	v_fma_f32 v11, -v20, v11, v1
	v_cmp_lt_f32_e64 s[2:3], 0, v11
	v_cndmask_b32_e64 v11, v17, v20, s[2:3]
	v_mul_f32_e32 v17, 0x37800000, v11
	v_cndmask_b32_e32 v11, v11, v17, vcc
	v_mov_b32_e32 v17, 0x260
	v_cmp_class_f32_e32 vcc, v1, v17
	v_cndmask_b32_e32 v1, v11, v1, vcc
	v_div_scale_f32 v11, s[2:3], v1, v1, s6
	v_rcp_f32_e32 v17, v11
	v_mov_b32_e32 v6, 0x359d422f
	v_fmac_f32_e32 v6, v10, v12
	v_mov_b32_e32 v12, 0x31a8fe3a
	v_fmac_f32_e32 v12, v10, v6
	v_fma_f32 v6, -v11, v17, 1.0
	v_fmac_f32_e32 v17, v6, v17
	v_div_scale_f32 v6, vcc, s6, v1, s6
	v_mul_f32_e32 v10, v6, v17
	v_fma_f32 v20, -v11, v10, v6
	v_fmac_f32_e32 v10, v20, v17
	v_fma_f32 v6, -v11, v10, v6
	v_div_fmas_f32 v6, v6, v17, v10
	v_mov_b32_e32 v14, 0x3c0881c4
	v_div_fixup_f32 v1, v6, v1, s6
	v_mul_f32_e32 v6, v9, v9
	v_mov_b32_e32 v15, 0xbab64f3b
	v_fmac_f32_e32 v14, 0xb94c1982, v6
	v_fmac_f32_e32 v16, v6, v14
	;; [unrolled: 1-line block ×3, first 2 shown]
	v_mul_f32_e32 v10, v6, v16
	v_fmac_f32_e32 v18, v6, v15
	v_fmac_f32_e32 v9, v9, v10
	;; [unrolled: 1-line block ×3, first 2 shown]
	v_and_b32_e32 v10, 1, v7
	v_mul_f32_e32 v4, v4, v5
	v_fma_f32 v6, v6, v19, 1.0
	v_cmp_eq_u32_e32 vcc, 0, v10
	v_div_scale_f32 v5, s[2:3], v12, v12, v4
	v_cndmask_b32_e64 v6, -v9, v6, vcc
	v_rcp_f32_e32 v9, v5
	v_lshlrev_b32_e32 v7, 30, v7
	v_and_b32_e32 v7, 0x80000000, v7
	v_xor_b32_e32 v6, v7, v6
	v_fma_f32 v7, -v5, v9, 1.0
	v_fmac_f32_e32 v9, v7, v9
	v_div_scale_f32 v7, vcc, v4, v12, v4
	v_mul_f32_e32 v10, v7, v9
	v_fma_f32 v11, -v5, v10, v7
	v_fmac_f32_e32 v10, v11, v9
	v_fma_f32 v5, -v5, v10, v7
	v_div_fmas_f32 v5, v5, v9, v10
	v_cndmask_b32_e64 v6, v13, v6, s[0:1]
	v_div_fixup_f32 v4, v5, v12, v4
	v_add_f32_e32 v3, 1.0, v3
	v_mul_f32_e32 v4, v4, v6
	v_fma_f32 v2, v3, v2, -v4
	v_mul_f32_e32 v1, v1, v2
.LBB19_264:
	s_or_b64 exec, exec, s[12:13]
.LBB19_265:
	s_or_b64 exec, exec, s[10:11]
.LBB19_266:
	s_or_b64 exec, exec, s[8:9]
	v_add_u32_e32 v8, 0x80, v8
	global_store_dword v0, v1, s[24:25]
	s_or_b64 exec, exec, s[50:51]
	v_cmp_gt_i32_e32 vcc, s57, v8
	s_and_saveexec_b64 s[50:51], vcc
	s_cbranch_execz .LBB19_255
.LBB19_267:
	s_andn2_b64 vcc, exec, s[34:35]
	s_cbranch_vccnz .LBB19_273
; %bb.268:
	s_mov_b32 s6, 0
	s_andn2_b64 vcc, exec, s[48:49]
	v_mov_b32_e32 v2, 0
	v_mov_b32_e32 v0, 0
	s_cbranch_vccnz .LBB19_279
; %bb.269:
	s_add_i32 s58, s58, 1
	s_cmp_eq_u32 s56, 2
	s_cbranch_scc1 .LBB19_274
; %bb.270:
	s_and_b32 s6, s58, 28
	s_mov_b32 s7, 0
	v_mov_b32_e32 v0, 0
	s_mov_b64 s[48:49], s[4:5]
	v_mov_b32_e32 v3, v8
	v_mov_b32_e32 v2, 0
.LBB19_271:                             ; =>This Inner Loop Header: Depth=1
	s_load_dwordx8 s[16:23], s[48:49], 0x4
	s_load_dwordx4 s[0:3], s[48:49], 0x24
	s_load_dwordx8 s[8:15], s[46:47], 0x0
	s_add_u32 s48, s48, 48
	s_addc_u32 s49, s49, 0
	s_waitcnt lgkmcnt(0)
	v_mul_hi_u32 v1, s17, v3
	v_add_u32_e32 v1, v3, v1
	v_lshrrev_b32_e32 v1, s18, v1
	v_mul_lo_u32 v4, v1, s16
	v_mul_hi_u32 v5, s20, v1
	v_sub_u32_e32 v3, v3, v4
	v_add_u32_e32 v4, v1, v5
	v_lshrrev_b32_e32 v4, s21, v4
	v_mul_lo_u32 v6, v4, s19
	v_mul_hi_u32 v7, s23, v4
	v_sub_u32_e32 v1, v1, v6
	v_add_u32_e32 v6, v4, v7
	v_mul_lo_u32 v5, v3, s9
	v_mul_lo_u32 v3, v3, s8
	;; [unrolled: 1-line block ×4, first 2 shown]
	v_lshrrev_b32_e32 v6, s0, v6
	v_add3_u32 v0, v3, v0, v1
	v_mul_hi_u32 v3, s2, v6
	v_add_u32_e32 v3, v6, v3
	v_lshrrev_b32_e32 v3, s3, v3
	s_add_i32 s7, s7, 4
	v_add3_u32 v1, v5, v2, v7
	v_mul_lo_u32 v2, v6, s22
	v_mul_lo_u32 v5, v3, s1
	s_add_u32 s46, s46, 32
	v_sub_u32_e32 v2, v4, v2
	v_sub_u32_e32 v5, v6, v5
	s_addc_u32 s47, s47, 0
	v_mul_lo_u32 v4, v2, s12
	v_mul_lo_u32 v2, v2, s13
	;; [unrolled: 1-line block ×4, first 2 shown]
	s_cmp_eq_u32 s6, s7
	v_add3_u32 v2, v2, v1, v5
	v_add3_u32 v0, v4, v0, v6
	s_cbranch_scc0 .LBB19_271
; %bb.272:
	v_mov_b32_e32 v1, v2
	s_branch .LBB19_275
.LBB19_273:
                                        ; implicit-def: $vgpr2
                                        ; implicit-def: $vgpr0
	s_branch .LBB19_280
.LBB19_274:
	s_mov_b32 s7, s6
	v_pk_mov_b32 v[0:1], s[6:7], s[6:7] op_sel:[0,1]
                                        ; implicit-def: $vgpr2
	v_mov_b32_e32 v3, v8
.LBB19_275:
	s_and_b32 s7, s58, 3
	s_cmp_eq_u32 s7, 0
	s_cbranch_scc1 .LBB19_279
; %bb.276:
	s_lshl_b32 s0, s6, 3
	s_add_u32 s0, s0, s4
	s_addc_u32 s1, s5, 0
	s_add_u32 s0, s0, 0xc4
	s_addc_u32 s1, s1, 0
	s_mul_i32 s2, s6, 12
	s_add_u32 s2, s4, s2
	s_addc_u32 s3, s5, 0
.LBB19_277:                             ; =>This Inner Loop Header: Depth=1
	s_load_dwordx2 s[8:9], s[2:3], 0x4
	s_load_dword s6, s[2:3], 0xc
	s_load_dwordx2 s[10:11], s[0:1], 0x0
	v_mov_b32_e32 v2, v1
	s_add_u32 s2, s2, 12
	s_waitcnt lgkmcnt(0)
	v_mul_hi_u32 v1, s9, v3
	v_add_u32_e32 v1, v3, v1
	v_lshrrev_b32_e32 v1, s6, v1
	s_addc_u32 s3, s3, 0
	v_mul_lo_u32 v4, v1, s8
	s_add_u32 s0, s0, 8
	v_sub_u32_e32 v6, v3, v4
	v_mov_b32_e32 v3, v1
	s_addc_u32 s1, s1, 0
	s_add_i32 s7, s7, -1
	v_mad_u64_u32 v[4:5], s[8:9], v6, s11, v[2:3]
	v_mad_u64_u32 v[0:1], s[8:9], v6, s10, v[0:1]
	s_cmp_lg_u32 s7, 0
	v_mov_b32_e32 v1, v4
	s_cbranch_scc1 .LBB19_277
; %bb.278:
	v_mov_b32_e32 v2, v1
.LBB19_279:
	s_cbranch_execnz .LBB19_282
.LBB19_280:
	s_waitcnt lgkmcnt(0)
	v_mul_hi_u32 v0, s37, v8
	v_add_u32_e32 v0, v8, v0
	v_lshrrev_b32_e32 v1, s38, v0
	v_mul_lo_u32 v0, v1, s36
	v_sub_u32_e32 v0, v8, v0
	v_mul_lo_u32 v2, v0, s29
	s_andn2_b64 vcc, exec, s[44:45]
	v_mul_lo_u32 v0, v0, s28
	s_cbranch_vccnz .LBB19_282
; %bb.281:
	v_mul_hi_u32 v3, s42, v1
	v_add_u32_e32 v3, v1, v3
	v_lshrrev_b32_e32 v3, s43, v3
	v_mul_lo_u32 v3, v3, s39
	v_sub_u32_e32 v3, v1, v3
	v_mad_u64_u32 v[0:1], s[0:1], v3, s30, v[0:1]
	v_mad_u64_u32 v[2:3], s[0:1], v3, s31, v[2:3]
.LBB19_282:
	s_waitcnt lgkmcnt(0)
	global_load_dword v3, v2, s[26:27]
	s_mov_b32 s0, 0x7f800000
	v_mov_b32_e32 v1, 0x7fc00000
	s_waitcnt vmcnt(0)
	v_cmp_neq_f32_e64 s[0:1], |v3|, s0
	s_and_saveexec_b64 s[8:9], s[0:1]
	s_cbranch_execz .LBB19_304
; %bb.283:
	s_mov_b32 s0, 0x42cfc8b4
	v_cmp_nlt_f32_e32 vcc, s0, v3
	v_mov_b32_e32 v1, 0
	s_and_saveexec_b64 s[10:11], vcc
	s_cbranch_execz .LBB19_303
; %bb.284:
	s_mov_b32 s0, 0xc005c28f
	v_cmp_ngt_f32_e32 vcc, s0, v3
                                        ; implicit-def: $vgpr1
	s_and_saveexec_b64 s[0:1], vcc
	s_xor_b64 s[2:3], exec, s[0:1]
	s_cbranch_execz .LBB19_292
; %bb.285:
	s_mov_b32 s0, 0x4005c28f
	v_cmp_nle_f32_e64 s[6:7], s0, v3
	v_cmp_le_f32_e32 vcc, s0, v3
	v_mov_b32_e32 v1, 0
	s_mov_b64 s[0:1], s[6:7]
	s_and_saveexec_b64 s[12:13], vcc
	s_cbranch_execz .LBB19_287
; %bb.286:
	s_mov_b32 s14, 0xf800000
	v_mul_f32_e32 v1, 0x4f800000, v3
	v_cmp_gt_f32_e32 vcc, s14, v3
	v_cndmask_b32_e32 v1, v3, v1, vcc
	v_sqrt_f32_e32 v2, v1
	v_add_f32_e32 v4, v3, v3
	s_mov_b32 s15, 0x40400000
	v_add_u32_e32 v5, -1, v2
	v_fma_f32 v6, -v5, v2, v1
	v_cmp_ge_f32_e64 s[0:1], 0, v6
	v_add_u32_e32 v6, 1, v2
	v_cndmask_b32_e64 v5, v2, v5, s[0:1]
	v_fma_f32 v2, -v6, v2, v1
	v_cmp_lt_f32_e64 s[0:1], 0, v2
	v_cndmask_b32_e64 v2, v5, v6, s[0:1]
	v_mul_f32_e32 v5, 0x37800000, v2
	v_cndmask_b32_e32 v2, v2, v5, vcc
	v_mov_b32_e32 v5, 0x260
	v_cmp_class_f32_e32 vcc, v1, v5
	v_cndmask_b32_e32 v1, v2, v1, vcc
	v_mul_f32_e32 v2, v4, v1
	v_div_scale_f32 v4, s[0:1], s15, s15, v2
	v_rcp_f32_e32 v6, v4
	v_fma_f32 v7, -v4, v6, 1.0
	v_fmac_f32_e32 v6, v7, v6
	v_div_scale_f32 v7, vcc, v2, s15, v2
	v_mul_f32_e32 v8, v7, v6
	v_fma_f32 v9, -v4, v8, v7
	v_fmac_f32_e32 v8, v9, v6
	v_fma_f32 v4, -v4, v8, v7
	v_div_fmas_f32 v4, v4, v6, v8
	v_div_fixup_f32 v2, v4, s15, v2
	v_div_scale_f32 v4, s[0:1], v2, v2, 1.0
	v_rcp_f32_e32 v6, v4
	v_fma_f32 v7, -v4, v6, 1.0
	v_fmac_f32_e32 v6, v7, v6
	v_div_scale_f32 v7, vcc, 1.0, v2, 1.0
	v_mul_f32_e32 v8, v7, v6
	v_fma_f32 v9, -v4, v8, v7
	v_fmac_f32_e32 v8, v9, v6
	v_fma_f32 v4, -v4, v8, v7
	v_div_fmas_f32 v4, v4, v6, v8
	v_div_fixup_f32 v4, v4, v2, 1.0
	v_mov_b32_e32 v6, 0x3eb16d71
	v_fmac_f32_e32 v6, 0, v4
	v_mov_b32_e32 v7, 0x41401f1c
	v_fmac_f32_e32 v7, v4, v6
	;; [unrolled: 2-line block ×14, first 2 shown]
	v_fma_f32 v7, v4, v7, 1.0
	v_fma_f32 v4, v4, v6, 1.0
	v_div_scale_f32 v6, s[0:1], v7, v7, v4
	v_rcp_f32_e32 v8, v6
	v_cmp_gt_f32_e64 s[0:1], s14, v1
	v_fma_f32 v9, -v6, v8, 1.0
	v_fmac_f32_e32 v8, v9, v8
	v_div_scale_f32 v9, vcc, v4, v7, v4
	v_mul_f32_e32 v10, v9, v8
	v_fma_f32 v11, -v6, v10, v9
	v_fmac_f32_e32 v10, v11, v8
	v_fma_f32 v6, -v6, v10, v9
	v_mul_f32_e32 v9, 0x4f800000, v1
	v_cndmask_b32_e64 v1, v1, v9, s[0:1]
	v_sqrt_f32_e32 v9, v1
	v_div_fmas_f32 v6, v6, v8, v10
	v_div_fixup_f32 v4, v6, v7, v4
	v_add_u32_e32 v6, -1, v9
	v_fma_f32 v7, -v6, v9, v1
	v_cmp_ge_f32_e32 vcc, 0, v7
	v_add_u32_e32 v7, 1, v9
	v_fma_f32 v8, -v7, v9, v1
	v_cndmask_b32_e32 v6, v9, v6, vcc
	v_cmp_lt_f32_e32 vcc, 0, v8
	v_cndmask_b32_e32 v6, v6, v7, vcc
	v_mul_f32_e32 v7, 0x37800000, v6
	v_cndmask_b32_e64 v6, v6, v7, s[0:1]
	v_cmp_class_f32_e32 vcc, v1, v5
	v_cndmask_b32_e32 v5, v6, v1, vcc
	s_mov_b32 s0, 0x3fb8aa3b
	v_mul_f32_e32 v1, 0x3fb8aa3b, v2
	v_fma_f32 v6, v2, s0, -v1
	v_rndne_f32_e32 v7, v1
	v_fmac_f32_e32 v6, 0x32a5705f, v2
	v_sub_f32_e32 v1, v1, v7
	v_add_f32_e32 v1, v1, v6
	v_exp_f32_e32 v1, v1
	v_cvt_i32_f32_e32 v6, v7
	s_mov_b32 s0, 0x3f106ebb
	s_mov_b32 s1, 2.0
	v_pk_mul_f32 v[4:5], v[4:5], s[0:1]
	s_mov_b32 s0, 0xc2ce8ed0
	v_ldexp_f32 v1, v1, v6
	v_cmp_ngt_f32_e32 vcc, s0, v2
	s_mov_b32 s0, 0x42b17218
	v_cndmask_b32_e32 v1, 0, v1, vcc
	v_mov_b32_e32 v6, 0x7f800000
	v_cmp_nlt_f32_e32 vcc, s0, v2
	v_cndmask_b32_e32 v1, v6, v1, vcc
	v_mul_f32_e32 v1, v5, v1
	v_div_scale_f32 v2, s[0:1], v1, v1, v4
	v_rcp_f32_e32 v5, v2
	s_mov_b32 s0, 0x41052018
	v_fma_f32 v6, -v2, v5, 1.0
	v_fmac_f32_e32 v5, v6, v5
	v_div_scale_f32 v6, vcc, v4, v1, v4
	v_mul_f32_e32 v7, v6, v5
	v_fma_f32 v8, -v2, v7, v6
	v_fmac_f32_e32 v7, v8, v5
	v_fma_f32 v2, -v2, v7, v6
	v_div_fmas_f32 v2, v2, v5, v7
	v_cmp_nlt_f32_e32 vcc, s0, v3
	s_andn2_b64 s[0:1], s[6:7], exec
	s_and_b64 s[14:15], vcc, exec
	v_div_fixup_f32 v1, v2, v1, v4
	s_or_b64 s[0:1], s[0:1], s[14:15]
.LBB19_287:
	s_or_b64 exec, exec, s[12:13]
	s_and_saveexec_b64 s[12:13], s[0:1]
	s_cbranch_execz .LBB19_291
; %bb.288:
	v_mul_f32_e32 v2, v3, v3
	v_mul_f32_e32 v4, v3, v2
	v_mov_b32_e32 v8, 1.0
	v_mov_b32_e32 v5, v4
	s_mov_b64 s[14:15], 0
	s_brev_b32 s16, 44
	v_mov_b32_e32 v2, v8
	v_mov_b32_e32 v6, 1.0
	v_mov_b32_e32 v7, v3
.LBB19_289:                             ; =>This Inner Loop Header: Depth=1
	v_pk_mul_f32 v[6:7], v[4:5], v[6:7]
	v_add_f32_e32 v9, 1.0, v8
	v_add_f32_e32 v10, 1.0, v9
	v_div_scale_f32 v11, s[0:1], v9, v9, v6
	v_rcp_f32_e32 v13, v11
	v_div_scale_f32 v14, s[0:1], v10, v10, v7
	v_rcp_f32_e32 v16, v14
	v_fma_f32 v17, -v11, v13, 1.0
	v_div_scale_f32 v12, vcc, v6, v9, v6
	v_fmac_f32_e32 v13, v17, v13
	v_fma_f32 v17, -v14, v16, 1.0
	v_div_scale_f32 v15, s[0:1], v7, v10, v7
	v_mul_f32_e32 v18, v12, v13
	v_fmac_f32_e32 v16, v17, v16
	v_fma_f32 v17, -v11, v18, v12
	v_mul_f32_e32 v19, v15, v16
	v_fmac_f32_e32 v18, v17, v13
	v_fma_f32 v17, -v14, v19, v15
	v_fma_f32 v11, -v11, v18, v12
	v_fmac_f32_e32 v19, v17, v16
	v_div_fmas_f32 v11, v11, v13, v18
	v_fma_f32 v12, -v14, v19, v15
	s_mov_b64 vcc, s[0:1]
	v_div_fixup_f32 v6, v11, v9, v6
	v_div_fmas_f32 v9, v12, v16, v19
	v_add_f32_e32 v8, 1.0, v10
	v_div_fixup_f32 v7, v9, v10, v7
	v_div_scale_f32 v9, s[0:1], v10, v10, v6
	v_div_scale_f32 v12, s[18:19], v8, v8, v7
	v_rcp_f32_e32 v14, v9
	v_rcp_f32_e32 v15, v12
	v_div_scale_f32 v11, s[0:1], v6, v10, v6
	v_fma_f32 v16, -v9, v14, 1.0
	v_fma_f32 v17, -v12, v15, 1.0
	v_div_scale_f32 v13, vcc, v7, v8, v7
	v_fmac_f32_e32 v14, v16, v14
	v_fmac_f32_e32 v15, v17, v15
	v_mul_f32_e32 v16, v11, v14
	v_mul_f32_e32 v17, v13, v15
	v_fma_f32 v18, -v9, v16, v11
	v_fma_f32 v19, -v12, v17, v13
	v_fmac_f32_e32 v16, v18, v14
	v_fmac_f32_e32 v17, v19, v15
	v_fma_f32 v9, -v9, v16, v11
	v_fma_f32 v11, -v12, v17, v13
	v_div_fmas_f32 v11, v11, v15, v17
	s_mov_b64 vcc, s[0:1]
	v_div_fmas_f32 v9, v9, v14, v16
	v_div_fixup_f32 v7, v11, v8, v7
	v_div_fixup_f32 v6, v9, v10, v6
	v_pk_add_f32 v[2:3], v[2:3], v[6:7]
	v_div_scale_f32 v9, s[0:1], v2, v2, v6
	v_rcp_f32_e32 v10, v9
	v_div_scale_f32 v11, vcc, v6, v2, v6
	v_fma_f32 v12, -v9, v10, 1.0
	v_fmac_f32_e32 v10, v12, v10
	v_mul_f32_e32 v12, v11, v10
	v_fma_f32 v13, -v9, v12, v11
	v_fmac_f32_e32 v12, v13, v10
	v_fma_f32 v9, -v9, v12, v11
	v_div_fmas_f32 v9, v9, v10, v12
	v_div_fixup_f32 v9, v9, v2, v6
	v_cmp_ngt_f32_e64 s[0:1], |v9|, s16
	s_or_b64 s[14:15], s[0:1], s[14:15]
	s_andn2_b64 exec, exec, s[14:15]
	s_cbranch_execnz .LBB19_289
; %bb.290:
	s_or_b64 exec, exec, s[14:15]
	s_mov_b32 s0, 0x3eb5c63d
	s_mov_b32 s1, 0x3e8483fa
	v_pk_mul_f32 v[2:3], v[2:3], s[0:1]
	v_sub_f32_e32 v2, v2, v3
	v_cndmask_b32_e64 v1, v1, v2, s[6:7]
.LBB19_291:
	s_or_b64 exec, exec, s[12:13]
                                        ; implicit-def: $vgpr3
.LBB19_292:
	s_andn2_saveexec_b64 s[12:13], s[2:3]
	s_cbranch_execz .LBB19_302
; %bb.293:
	s_mov_b32 s0, 0x8f800000
	v_mul_f32_e32 v1, 0xcf800000, v3
	v_cmp_lt_f32_e32 vcc, s0, v3
	v_cndmask_b32_e64 v1, -v3, v1, vcc
	v_sqrt_f32_e32 v2, v1
	v_mul_f32_e32 v3, -2.0, v3
	s_mov_b32 s2, 0x40400000
	v_add_u32_e32 v4, -1, v2
	v_fma_f32 v5, -v4, v2, v1
	v_cmp_ge_f32_e64 s[0:1], 0, v5
	v_add_u32_e32 v5, 1, v2
	v_cndmask_b32_e64 v4, v2, v4, s[0:1]
	v_fma_f32 v2, -v5, v2, v1
	v_cmp_lt_f32_e64 s[0:1], 0, v2
	v_cndmask_b32_e64 v2, v4, v5, s[0:1]
	v_mul_f32_e32 v4, 0x37800000, v2
	v_cndmask_b32_e32 v2, v2, v4, vcc
	v_mov_b32_e32 v4, 0x260
	v_cmp_class_f32_e32 vcc, v1, v4
	v_cndmask_b32_e32 v1, v2, v1, vcc
	v_mul_f32_e32 v2, v3, v1
	v_div_scale_f32 v3, s[0:1], s2, s2, v2
	v_rcp_f32_e32 v4, v3
	s_brev_b32 s0, 18
	v_fma_f32 v5, -v3, v4, 1.0
	v_fmac_f32_e32 v4, v5, v4
	v_div_scale_f32 v5, vcc, v2, s2, v2
	v_mul_f32_e32 v6, v5, v4
	v_fma_f32 v7, -v3, v6, v5
	v_fmac_f32_e32 v6, v7, v4
	v_fma_f32 v3, -v3, v6, v5
	v_div_fmas_f32 v3, v3, v4, v6
	v_div_fixup_f32 v4, v3, s2, v2
	v_add_f32_e32 v2, 0x3f490fdb, v4
	v_and_b32_e32 v3, 0x7fffffff, v2
	v_cmp_nlt_f32_e64 s[14:15], |v2|, s0
                                        ; implicit-def: $vgpr5
                                        ; implicit-def: $vgpr6
	s_and_saveexec_b64 s[0:1], s[14:15]
	s_xor_b64 s[16:17], exec, s[0:1]
	s_cbranch_execz .LBB19_295
; %bb.294:
	v_lshrrev_b32_e32 v5, 23, v3
	v_add_u32_e32 v5, 0xffffff88, v5
	v_not_b32_e32 v6, 63
	v_cmp_lt_u32_e32 vcc, 63, v5
	v_cndmask_b32_e32 v6, 0, v6, vcc
	v_add_u32_e32 v5, v6, v5
	v_not_b32_e32 v6, 31
	v_cmp_lt_u32_e64 s[0:1], 31, v5
	v_cndmask_b32_e64 v8, 0, v6, s[0:1]
	v_add_u32_e32 v5, v8, v5
	v_cmp_lt_u32_e64 s[2:3], 31, v5
	v_cndmask_b32_e64 v6, 0, v6, s[2:3]
	v_add_u32_e32 v5, v6, v5
	v_and_b32_e32 v6, 0x7fffff, v3
	v_or_b32_e32 v20, 0x800000, v6
	s_mov_b32 s6, 0xfe5163ab
	v_mad_u64_u32 v[8:9], s[6:7], v20, s6, 0
	v_mov_b32_e32 v7, 0
	v_mov_b32_e32 v6, v9
	s_mov_b32 s6, 0x3c439041
	v_mad_u64_u32 v[10:11], s[6:7], v20, s6, v[6:7]
	v_mov_b32_e32 v6, v11
	s_mov_b32 s6, 0xdb629599
	v_mad_u64_u32 v[12:13], s[6:7], v20, s6, v[6:7]
	;; [unrolled: 3-line block ×6, first 2 shown]
	v_cndmask_b32_e32 v9, v18, v14, vcc
	v_cndmask_b32_e32 v6, v6, v16, vcc
	;; [unrolled: 1-line block ×3, first 2 shown]
	v_cndmask_b32_e64 v11, v6, v9, s[0:1]
	v_cndmask_b32_e64 v6, v7, v6, s[0:1]
	v_cndmask_b32_e32 v7, v16, v12, vcc
	v_cndmask_b32_e64 v9, v9, v7, s[0:1]
	v_cndmask_b32_e64 v6, v6, v11, s[2:3]
	;; [unrolled: 1-line block ×3, first 2 shown]
	v_sub_u32_e32 v13, 32, v5
	v_alignbit_b32 v15, v6, v11, v13
	v_cmp_eq_u32_e64 s[6:7], 0, v5
	v_cndmask_b32_e64 v5, v15, v6, s[6:7]
	v_cndmask_b32_e32 v6, v14, v10, vcc
	v_cndmask_b32_e64 v7, v7, v6, s[0:1]
	v_cndmask_b32_e64 v9, v9, v7, s[2:3]
	v_alignbit_b32 v10, v11, v9, v13
	v_cndmask_b32_e32 v8, v12, v8, vcc
	v_cndmask_b32_e64 v10, v10, v11, s[6:7]
	v_bfe_u32 v15, v5, 29, 1
	v_cndmask_b32_e64 v6, v6, v8, s[0:1]
	v_alignbit_b32 v11, v5, v10, 30
	v_sub_u32_e32 v16, 0, v15
	v_cndmask_b32_e64 v6, v7, v6, s[2:3]
	v_xor_b32_e32 v17, v11, v16
	v_alignbit_b32 v7, v9, v6, v13
	v_cndmask_b32_e64 v7, v7, v9, s[6:7]
	v_ffbh_u32_e32 v9, v17
	v_add_u32_e32 v9, 1, v9
	v_cmp_ne_u32_e32 vcc, v11, v16
	v_alignbit_b32 v8, v10, v7, 30
	v_cndmask_b32_e32 v9, 33, v9, vcc
	v_alignbit_b32 v6, v7, v6, 30
	v_xor_b32_e32 v8, v8, v16
	v_sub_u32_e32 v10, 32, v9
	v_xor_b32_e32 v6, v6, v16
	v_alignbit_b32 v11, v17, v8, v10
	v_alignbit_b32 v6, v8, v6, v10
	;; [unrolled: 1-line block ×3, first 2 shown]
	v_ffbh_u32_e32 v8, v7
	v_min_u32_e32 v8, 32, v8
	v_lshrrev_b32_e32 v14, 29, v5
	v_sub_u32_e32 v10, 31, v8
	v_alignbit_b32 v6, v7, v6, v10
	v_lshlrev_b32_e32 v7, 31, v14
	v_or_b32_e32 v10, 0x33800000, v7
	v_add_lshl_u32 v8, v8, v9, 23
	v_lshrrev_b32_e32 v6, 9, v6
	v_sub_u32_e32 v8, v10, v8
	v_or_b32_e32 v6, v8, v6
	v_alignbit_b32 v8, v9, v11, 9
	v_or_b32_e32 v7, v8, v7
	v_xor_b32_e32 v7, 1.0, v7
	s_mov_b32 s0, 0x3fc90fda
	v_mul_f32_e32 v8, 0x3fc90fda, v7
	v_fma_f32 v9, v7, s0, -v8
	v_fmac_f32_e32 v9, 0x33a22168, v7
	v_fmac_f32_e32 v9, 0x3fc90fda, v6
	v_lshrrev_b32_e32 v5, 30, v5
	v_add_f32_e32 v6, v8, v9
	v_add_u32_e32 v5, v15, v5
	s_andn2_saveexec_b64 s[0:1], s[16:17]
	s_branch .LBB19_296
.LBB19_295:
	s_andn2_saveexec_b64 s[0:1], s[16:17]
.LBB19_296:
	s_mov_b32 s2, 0x3f22f983
	v_mul_f32_e64 v5, |v2|, s2
	v_rndne_f32_e32 v7, v5
	s_mov_b32 s2, 0xbfc90fda
	v_cvt_i32_f32_e32 v5, v7
	v_fma_f32 v6, v7, s2, |v2|
	v_fmac_f32_e32 v6, 0xb3a22168, v7
	v_fmac_f32_e32 v6, 0xa7c234c4, v7
; %bb.297:
	s_or_b64 exec, exec, s[0:1]
                                        ; implicit-def: $vgpr7
                                        ; implicit-def: $vgpr8
	s_and_saveexec_b64 s[0:1], s[14:15]
	s_xor_b64 s[14:15], exec, s[0:1]
	s_cbranch_execz .LBB19_299
; %bb.298:
	v_lshrrev_b32_e32 v7, 23, v3
	v_add_u32_e32 v7, 0xffffff88, v7
	v_not_b32_e32 v8, 63
	v_cmp_lt_u32_e32 vcc, 63, v7
	v_cndmask_b32_e32 v8, 0, v8, vcc
	v_add_u32_e32 v7, v8, v7
	v_not_b32_e32 v8, 31
	v_cmp_lt_u32_e64 s[0:1], 31, v7
	v_cndmask_b32_e64 v10, 0, v8, s[0:1]
	v_add_u32_e32 v7, v10, v7
	v_cmp_lt_u32_e64 s[2:3], 31, v7
	v_cndmask_b32_e64 v8, 0, v8, s[2:3]
	v_add_u32_e32 v7, v8, v7
	v_and_b32_e32 v8, 0x7fffff, v3
	v_or_b32_e32 v22, 0x800000, v8
	s_mov_b32 s6, 0xfe5163ab
	v_mad_u64_u32 v[10:11], s[6:7], v22, s6, 0
	v_mov_b32_e32 v9, 0
	v_mov_b32_e32 v8, v11
	s_mov_b32 s6, 0x3c439041
	v_mad_u64_u32 v[12:13], s[6:7], v22, s6, v[8:9]
	v_mov_b32_e32 v8, v13
	s_mov_b32 s6, 0xdb629599
	v_mad_u64_u32 v[14:15], s[6:7], v22, s6, v[8:9]
	;; [unrolled: 3-line block ×6, first 2 shown]
	v_cndmask_b32_e32 v11, v20, v16, vcc
	v_cndmask_b32_e32 v8, v8, v18, vcc
	;; [unrolled: 1-line block ×3, first 2 shown]
	v_cndmask_b32_e64 v13, v8, v11, s[0:1]
	v_cndmask_b32_e64 v8, v9, v8, s[0:1]
	v_cndmask_b32_e32 v9, v18, v14, vcc
	v_cndmask_b32_e64 v11, v11, v9, s[0:1]
	v_cndmask_b32_e64 v8, v8, v13, s[2:3]
	;; [unrolled: 1-line block ×3, first 2 shown]
	v_sub_u32_e32 v15, 32, v7
	v_alignbit_b32 v17, v8, v13, v15
	v_cmp_eq_u32_e64 s[6:7], 0, v7
	v_cndmask_b32_e64 v7, v17, v8, s[6:7]
	v_cndmask_b32_e32 v8, v16, v12, vcc
	v_cndmask_b32_e64 v9, v9, v8, s[0:1]
	v_cndmask_b32_e64 v11, v11, v9, s[2:3]
	v_alignbit_b32 v12, v13, v11, v15
	v_cndmask_b32_e32 v10, v14, v10, vcc
	v_cndmask_b32_e64 v12, v12, v13, s[6:7]
	v_bfe_u32 v17, v7, 29, 1
	v_cndmask_b32_e64 v8, v8, v10, s[0:1]
	v_alignbit_b32 v13, v7, v12, 30
	v_sub_u32_e32 v18, 0, v17
	v_cndmask_b32_e64 v8, v9, v8, s[2:3]
	v_xor_b32_e32 v19, v13, v18
	v_alignbit_b32 v9, v11, v8, v15
	v_cndmask_b32_e64 v9, v9, v11, s[6:7]
	v_ffbh_u32_e32 v11, v19
	v_add_u32_e32 v11, 1, v11
	v_cmp_ne_u32_e32 vcc, v13, v18
	v_alignbit_b32 v10, v12, v9, 30
	v_cndmask_b32_e32 v11, 33, v11, vcc
	v_alignbit_b32 v8, v9, v8, 30
	v_xor_b32_e32 v10, v10, v18
	v_sub_u32_e32 v12, 32, v11
	v_xor_b32_e32 v8, v8, v18
	v_alignbit_b32 v13, v19, v10, v12
	v_alignbit_b32 v8, v10, v8, v12
	;; [unrolled: 1-line block ×3, first 2 shown]
	v_ffbh_u32_e32 v10, v9
	v_min_u32_e32 v10, 32, v10
	v_lshrrev_b32_e32 v16, 29, v7
	v_sub_u32_e32 v12, 31, v10
	v_alignbit_b32 v8, v9, v8, v12
	v_lshlrev_b32_e32 v9, 31, v16
	v_or_b32_e32 v12, 0x33800000, v9
	v_add_lshl_u32 v10, v10, v11, 23
	v_lshrrev_b32_e32 v8, 9, v8
	v_sub_u32_e32 v10, v12, v10
	v_or_b32_e32 v8, v10, v8
	v_alignbit_b32 v10, v11, v13, 9
	v_or_b32_e32 v9, v10, v9
	v_xor_b32_e32 v9, 1.0, v9
	s_mov_b32 s0, 0x3fc90fda
	v_mul_f32_e32 v10, 0x3fc90fda, v9
	v_fma_f32 v11, v9, s0, -v10
	v_fmac_f32_e32 v11, 0x33a22168, v9
	v_fmac_f32_e32 v11, 0x3fc90fda, v8
	v_lshrrev_b32_e32 v7, 30, v7
	v_add_f32_e32 v8, v10, v11
	v_add_u32_e32 v7, v17, v7
	s_andn2_saveexec_b64 s[0:1], s[14:15]
	s_cbranch_execnz .LBB19_300
	s_branch .LBB19_301
.LBB19_299:
	s_andn2_saveexec_b64 s[0:1], s[14:15]
.LBB19_300:
	s_mov_b32 s2, 0x3f22f983
	v_mul_f32_e64 v7, |v2|, s2
	v_rndne_f32_e32 v9, v7
	s_mov_b32 s2, 0xbfc90fda
	v_cvt_i32_f32_e32 v7, v9
	v_fma_f32 v8, v9, s2, |v2|
	v_fmac_f32_e32 v8, 0xb3a22168, v9
	v_fmac_f32_e32 v8, 0xa7c234c4, v9
.LBB19_301:
	s_or_b64 exec, exec, s[0:1]
	v_div_scale_f32 v9, s[0:1], v4, v4, 1.0
	v_rcp_f32_e32 v10, v9
	v_div_scale_f32 v11, vcc, 1.0, v4, 1.0
	v_mov_b32_e32 v16, 0xbab64f3b
	v_fma_f32 v12, -v9, v10, 1.0
	v_fmac_f32_e32 v10, v12, v10
	v_mul_f32_e32 v12, v11, v10
	v_fma_f32 v13, -v9, v12, v11
	v_fmac_f32_e32 v12, v13, v10
	v_fma_f32 v9, -v9, v12, v11
	v_div_fmas_f32 v9, v9, v10, v12
	v_div_fixup_f32 v4, v9, v4, 1.0
	v_mul_f32_e32 v9, v4, v4
	v_mov_b32_e32 v10, 0xbe06db67
	v_fmac_f32_e32 v10, 0, v9
	v_mov_b32_e32 v11, 0xbf205f75
	v_fmac_f32_e32 v11, v9, v10
	;; [unrolled: 2-line block ×18, first 2 shown]
	v_mul_f32_e32 v11, v6, v6
	v_mov_b32_e32 v14, 0x3c0881c4
	v_fmac_f32_e32 v16, 0x37d75334, v11
	v_mov_b32_e32 v17, 0x3d2aabf7
	v_fmac_f32_e32 v14, 0xb94c1982, v11
	v_mov_b32_e32 v15, 0xbe2aaa9d
	v_fma_f32 v16, v11, v16, v17
	v_mov_b32_e32 v18, 0xbf000004
	v_fma_f32 v14, v11, v14, v15
	v_fma_f32 v16, v11, v16, v18
	v_mul_f32_e32 v14, v11, v14
	v_fma_f32 v11, v11, v16, 1.0
	v_and_b32_e32 v16, 1, v5
	v_lshlrev_b32_e32 v5, 30, v5
	v_fmac_f32_e32 v6, v6, v14
	v_cmp_eq_u32_e32 vcc, 0, v16
	v_and_b32_e32 v5, 0x80000000, v5
	v_xor_b32_e32 v3, v3, v2
	v_cndmask_b32_e32 v6, v11, v6, vcc
	v_xor_b32_e32 v3, v3, v5
	v_mul_f32_e32 v5, v9, v12
	v_xor_b32_e32 v3, v3, v6
	v_div_scale_f32 v6, s[0:1], v10, v10, v5
	v_rcp_f32_e32 v11, v6
	s_movk_i32 s2, 0x1f8
	v_mov_b32_e32 v12, 0x7fc00000
	v_cmp_class_f32_e64 s[0:1], v2, s2
	v_cndmask_b32_e64 v2, v12, v3, s[0:1]
	v_fma_f32 v3, -v6, v11, 1.0
	v_fmac_f32_e32 v11, v3, v11
	v_div_scale_f32 v3, vcc, v5, v10, v5
	v_mul_f32_e32 v16, v3, v11
	v_fma_f32 v19, -v6, v16, v3
	v_fmac_f32_e32 v16, v19, v11
	v_fma_f32 v3, -v6, v16, v3
	v_div_fmas_f32 v3, v3, v11, v16
	v_div_fixup_f32 v3, v3, v10, v5
	v_mov_b32_e32 v5, 0x3ca1a92f
	v_fmac_f32_e32 v5, 0, v9
	v_mov_b32_e32 v6, 0x3ec83ea8
	v_fmac_f32_e32 v6, v9, v5
	;; [unrolled: 2-line block ×17, first 2 shown]
	v_mov_b32_e32 v6, 0x3b873823
	s_mov_b32 s2, 0xf800000
	v_fmac_f32_e32 v6, v9, v10
	v_mul_f32_e32 v10, 0x4f800000, v1
	v_cmp_gt_f32_e32 vcc, s2, v1
	v_cndmask_b32_e32 v1, v1, v10, vcc
	v_sqrt_f32_e32 v10, v1
	s_mov_b32 s6, 0x3f106ebb
	v_mov_b32_e32 v11, 0x38d45b0f
	v_fmac_f32_e32 v11, v9, v6
	v_add_u32_e32 v16, -1, v10
	v_fma_f32 v19, -v16, v10, v1
	v_cmp_ge_f32_e64 s[2:3], 0, v19
	v_add_u32_e32 v19, 1, v10
	v_cndmask_b32_e64 v16, v10, v16, s[2:3]
	v_fma_f32 v10, -v19, v10, v1
	v_cmp_lt_f32_e64 s[2:3], 0, v10
	v_cndmask_b32_e64 v10, v16, v19, s[2:3]
	v_mul_f32_e32 v16, 0x37800000, v10
	v_cndmask_b32_e32 v10, v10, v16, vcc
	v_mov_b32_e32 v16, 0x260
	v_cmp_class_f32_e32 vcc, v1, v16
	v_cndmask_b32_e32 v1, v10, v1, vcc
	v_div_scale_f32 v10, s[2:3], v1, v1, s6
	v_rcp_f32_e32 v16, v10
	v_mov_b32_e32 v6, 0x359d422f
	v_fmac_f32_e32 v6, v9, v11
	v_mov_b32_e32 v11, 0x31a8fe3a
	v_fmac_f32_e32 v11, v9, v6
	v_fma_f32 v6, -v10, v16, 1.0
	v_fmac_f32_e32 v16, v6, v16
	v_div_scale_f32 v6, vcc, s6, v1, s6
	v_mul_f32_e32 v9, v6, v16
	v_fma_f32 v19, -v10, v9, v6
	v_fmac_f32_e32 v9, v19, v16
	v_fma_f32 v6, -v10, v9, v6
	v_div_fmas_f32 v6, v6, v16, v9
	v_mov_b32_e32 v13, 0x3c0881c4
	v_div_fixup_f32 v1, v6, v1, s6
	v_mul_f32_e32 v6, v8, v8
	v_mov_b32_e32 v14, 0xbab64f3b
	v_fmac_f32_e32 v13, 0xb94c1982, v6
	v_fmac_f32_e32 v15, v6, v13
	;; [unrolled: 1-line block ×3, first 2 shown]
	v_mul_f32_e32 v9, v6, v15
	v_fmac_f32_e32 v17, v6, v14
	v_fmac_f32_e32 v8, v8, v9
	;; [unrolled: 1-line block ×3, first 2 shown]
	v_and_b32_e32 v9, 1, v7
	v_mul_f32_e32 v4, v4, v5
	v_fma_f32 v6, v6, v18, 1.0
	v_cmp_eq_u32_e32 vcc, 0, v9
	v_div_scale_f32 v5, s[2:3], v11, v11, v4
	v_cndmask_b32_e64 v6, -v8, v6, vcc
	v_rcp_f32_e32 v8, v5
	v_lshlrev_b32_e32 v7, 30, v7
	v_and_b32_e32 v7, 0x80000000, v7
	v_xor_b32_e32 v6, v7, v6
	v_fma_f32 v7, -v5, v8, 1.0
	v_fmac_f32_e32 v8, v7, v8
	v_div_scale_f32 v7, vcc, v4, v11, v4
	v_mul_f32_e32 v9, v7, v8
	v_fma_f32 v10, -v5, v9, v7
	v_fmac_f32_e32 v9, v10, v8
	v_fma_f32 v5, -v5, v9, v7
	v_div_fmas_f32 v5, v5, v8, v9
	v_cndmask_b32_e64 v6, v12, v6, s[0:1]
	v_div_fixup_f32 v4, v5, v11, v4
	v_add_f32_e32 v3, 1.0, v3
	v_mul_f32_e32 v4, v4, v6
	v_fma_f32 v2, v3, v2, -v4
	v_mul_f32_e32 v1, v1, v2
.LBB19_302:
	s_or_b64 exec, exec, s[12:13]
.LBB19_303:
	s_or_b64 exec, exec, s[10:11]
.LBB19_304:
	s_or_b64 exec, exec, s[8:9]
	global_store_dword v0, v1, s[24:25]
	s_or_b64 exec, exec, s[50:51]
                                        ; implicit-def: $vgpr9
                                        ; implicit-def: $vgpr8
	s_andn2_saveexec_b64 s[0:1], s[40:41]
	s_cbranch_execz .LBB19_256
	s_branch .LBB19_9
	.section	.rodata,"a",@progbits
	.p2align	6, 0x0
	.amdhsa_kernel _ZN2at6native32elementwise_kernel_manual_unrollILi128ELi4EZNS0_22gpu_kernel_impl_nocastIZZZNS0_12_GLOBAL__N_119airy_ai_kernel_cudaERNS_18TensorIteratorBaseEENKUlvE_clEvENKUlvE0_clEvEUlfE_EEvS5_RKT_EUlibE_EEviT1_
		.amdhsa_group_segment_fixed_size 0
		.amdhsa_private_segment_fixed_size 0
		.amdhsa_kernarg_size 360
		.amdhsa_user_sgpr_count 6
		.amdhsa_user_sgpr_private_segment_buffer 1
		.amdhsa_user_sgpr_dispatch_ptr 0
		.amdhsa_user_sgpr_queue_ptr 0
		.amdhsa_user_sgpr_kernarg_segment_ptr 1
		.amdhsa_user_sgpr_dispatch_id 0
		.amdhsa_user_sgpr_flat_scratch_init 0
		.amdhsa_user_sgpr_kernarg_preload_length 0
		.amdhsa_user_sgpr_kernarg_preload_offset 0
		.amdhsa_user_sgpr_private_segment_size 0
		.amdhsa_uses_dynamic_stack 0
		.amdhsa_system_sgpr_private_segment_wavefront_offset 0
		.amdhsa_system_sgpr_workgroup_id_x 1
		.amdhsa_system_sgpr_workgroup_id_y 0
		.amdhsa_system_sgpr_workgroup_id_z 0
		.amdhsa_system_sgpr_workgroup_info 0
		.amdhsa_system_vgpr_workitem_id 0
		.amdhsa_next_free_vgpr 30
		.amdhsa_next_free_sgpr 60
		.amdhsa_accum_offset 32
		.amdhsa_reserve_vcc 1
		.amdhsa_reserve_flat_scratch 0
		.amdhsa_float_round_mode_32 0
		.amdhsa_float_round_mode_16_64 0
		.amdhsa_float_denorm_mode_32 3
		.amdhsa_float_denorm_mode_16_64 3
		.amdhsa_dx10_clamp 1
		.amdhsa_ieee_mode 1
		.amdhsa_fp16_overflow 0
		.amdhsa_tg_split 0
		.amdhsa_exception_fp_ieee_invalid_op 0
		.amdhsa_exception_fp_denorm_src 0
		.amdhsa_exception_fp_ieee_div_zero 0
		.amdhsa_exception_fp_ieee_overflow 0
		.amdhsa_exception_fp_ieee_underflow 0
		.amdhsa_exception_fp_ieee_inexact 0
		.amdhsa_exception_int_div_zero 0
	.end_amdhsa_kernel
	.section	.text._ZN2at6native32elementwise_kernel_manual_unrollILi128ELi4EZNS0_22gpu_kernel_impl_nocastIZZZNS0_12_GLOBAL__N_119airy_ai_kernel_cudaERNS_18TensorIteratorBaseEENKUlvE_clEvENKUlvE0_clEvEUlfE_EEvS5_RKT_EUlibE_EEviT1_,"axG",@progbits,_ZN2at6native32elementwise_kernel_manual_unrollILi128ELi4EZNS0_22gpu_kernel_impl_nocastIZZZNS0_12_GLOBAL__N_119airy_ai_kernel_cudaERNS_18TensorIteratorBaseEENKUlvE_clEvENKUlvE0_clEvEUlfE_EEvS5_RKT_EUlibE_EEviT1_,comdat
.Lfunc_end19:
	.size	_ZN2at6native32elementwise_kernel_manual_unrollILi128ELi4EZNS0_22gpu_kernel_impl_nocastIZZZNS0_12_GLOBAL__N_119airy_ai_kernel_cudaERNS_18TensorIteratorBaseEENKUlvE_clEvENKUlvE0_clEvEUlfE_EEvS5_RKT_EUlibE_EEviT1_, .Lfunc_end19-_ZN2at6native32elementwise_kernel_manual_unrollILi128ELi4EZNS0_22gpu_kernel_impl_nocastIZZZNS0_12_GLOBAL__N_119airy_ai_kernel_cudaERNS_18TensorIteratorBaseEENKUlvE_clEvENKUlvE0_clEvEUlfE_EEvS5_RKT_EUlibE_EEviT1_
                                        ; -- End function
	.section	.AMDGPU.csdata,"",@progbits
; Kernel info:
; codeLenInByte = 39916
; NumSgprs: 64
; NumVgprs: 30
; NumAgprs: 0
; TotalNumVgprs: 30
; ScratchSize: 0
; MemoryBound: 0
; FloatMode: 240
; IeeeMode: 1
; LDSByteSize: 0 bytes/workgroup (compile time only)
; SGPRBlocks: 7
; VGPRBlocks: 3
; NumSGPRsForWavesPerEU: 64
; NumVGPRsForWavesPerEU: 30
; AccumOffset: 32
; Occupancy: 8
; WaveLimiterHint : 1
; COMPUTE_PGM_RSRC2:SCRATCH_EN: 0
; COMPUTE_PGM_RSRC2:USER_SGPR: 6
; COMPUTE_PGM_RSRC2:TRAP_HANDLER: 0
; COMPUTE_PGM_RSRC2:TGID_X_EN: 1
; COMPUTE_PGM_RSRC2:TGID_Y_EN: 0
; COMPUTE_PGM_RSRC2:TGID_Z_EN: 0
; COMPUTE_PGM_RSRC2:TIDIG_COMP_CNT: 0
; COMPUTE_PGM_RSRC3_GFX90A:ACCUM_OFFSET: 7
; COMPUTE_PGM_RSRC3_GFX90A:TG_SPLIT: 0
	.text
	.p2align	2                               ; -- Begin function _ZN2at6native6invokeIZZZNS0_12_GLOBAL__N_119airy_ai_kernel_cudaERNS_18TensorIteratorBaseEENKUlvE_clEvENKUlvE0_clEvEUlfE_i15function_traitsIS7_EEENT1_11result_typeERKT_PrKPcPKT0_PKN3c1010ScalarTypeEi
	.type	_ZN2at6native6invokeIZZZNS0_12_GLOBAL__N_119airy_ai_kernel_cudaERNS_18TensorIteratorBaseEENKUlvE_clEvENKUlvE0_clEvEUlfE_i15function_traitsIS7_EEENT1_11result_typeERKT_PrKPcPKT0_PKN3c1010ScalarTypeEi,@function
_ZN2at6native6invokeIZZZNS0_12_GLOBAL__N_119airy_ai_kernel_cudaERNS_18TensorIteratorBaseEENKUlvE_clEvENKUlvE0_clEvEUlfE_i15function_traitsIS7_EEENT1_11result_typeERKT_PrKPcPKT0_PKN3c1010ScalarTypeEi: ; @_ZN2at6native6invokeIZZZNS0_12_GLOBAL__N_119airy_ai_kernel_cudaERNS_18TensorIteratorBaseEENKUlvE_clEvENKUlvE0_clEvEUlfE_i15function_traitsIS7_EEENT1_11result_typeERKT_PrKPcPKT0_PKN3c1010ScalarTypeEi
; %bb.0:
	s_waitcnt vmcnt(0) expcnt(0) lgkmcnt(0)
	v_mul_lo_u32 v2, v4, v2
	v_ashrrev_i32_e32 v4, 31, v2
	v_add_co_u32_e32 v0, vcc, v0, v2
	v_mov_b32_e32 v2, 10
	v_addc_co_u32_e32 v1, vcc, v1, v4, vcc
	v_cmp_gt_i16_sdwa s[4:5], v3, v2 src0_sel:BYTE_0 src1_sel:DWORD
	s_mov_b64 s[6:7], 0
                                        ; implicit-def: $vgpr5
	s_and_saveexec_b64 s[8:9], s[4:5]
	s_xor_b64 s[4:5], exec, s[8:9]
	s_cbranch_execz .LBB20_53
; %bb.1:
	v_mov_b32_e32 v2, 25
	v_cmp_gt_i16_sdwa s[10:11], v3, v2 src0_sel:BYTE_0 src1_sel:DWORD
	s_mov_b64 s[12:13], 0
	s_mov_b64 s[8:9], 0
                                        ; implicit-def: $vgpr5
	s_and_saveexec_b64 s[14:15], s[10:11]
	s_xor_b64 s[10:11], exec, s[14:15]
	s_cbranch_execz .LBB20_96
; %bb.2:
	v_mov_b32_e32 v2, 28
	v_cmp_gt_i16_sdwa s[8:9], v3, v2 src0_sel:BYTE_0 src1_sel:DWORD
	s_mov_b64 s[14:15], 0
                                        ; implicit-def: $vgpr5
	s_and_saveexec_b64 s[16:17], s[8:9]
	s_xor_b64 s[8:9], exec, s[16:17]
	s_cbranch_execz .LBB20_18
; %bb.3:
	v_mov_b32_e32 v2, 43
	v_cmp_gt_i16_sdwa s[12:13], v3, v2 src0_sel:BYTE_0 src1_sel:DWORD
	s_mov_b64 s[16:17], 0
	s_mov_b64 s[18:19], 0
                                        ; implicit-def: $vgpr5
	s_and_saveexec_b64 s[14:15], s[12:13]
	s_xor_b64 s[12:13], exec, s[14:15]
	s_cbranch_execz .LBB20_13
; %bb.4:
	v_mov_b32_e32 v2, 45
	v_cmp_gt_i16_sdwa s[18:19], v3, v2 src0_sel:BYTE_0 src1_sel:DWORD
	s_mov_b64 s[14:15], 0
                                        ; implicit-def: $vgpr5
	s_and_saveexec_b64 s[20:21], s[18:19]
	s_xor_b64 s[18:19], exec, s[20:21]
	s_cbranch_execz .LBB20_8
; %bb.5:
	v_mov_b32_e32 v2, 46
	v_cmp_eq_u16_sdwa s[22:23], v3, v2 src0_sel:BYTE_0 src1_sel:DWORD
	s_mov_b64 s[20:21], -1
                                        ; implicit-def: $vgpr5
	s_and_saveexec_b64 s[16:17], s[22:23]
	s_cbranch_execz .LBB20_7
; %bb.6:
	flat_load_dword v2, v[0:1]
	s_mov_b64 s[14:15], exec
	s_xor_b64 s[20:21], exec, -1
	s_waitcnt vmcnt(0) lgkmcnt(0)
	v_lshlrev_b32_e32 v5, 16, v2
.LBB20_7:
	s_or_b64 exec, exec, s[16:17]
	s_and_b64 s[16:17], s[14:15], exec
	s_and_b64 s[14:15], s[20:21], exec
                                        ; implicit-def: $vgpr3
.LBB20_8:
	s_andn2_saveexec_b64 s[18:19], s[18:19]
	s_cbranch_execz .LBB20_12
; %bb.9:
	v_mov_b32_e32 v2, 44
	v_cmp_eq_u16_sdwa s[26:27], v3, v2 src0_sel:BYTE_0 src1_sel:DWORD
	s_mov_b64 s[24:25], -1
	s_mov_b64 s[22:23], s[16:17]
                                        ; implicit-def: $vgpr5
	s_and_saveexec_b64 s[20:21], s[26:27]
	s_cbranch_execz .LBB20_11
; %bb.10:
	flat_load_ubyte v2, v[0:1]
	s_movk_i32 s24, 0xff
	v_mov_b32_e32 v3, 0x7f800001
	v_mov_b32_e32 v4, 0x400000
	s_or_b64 s[22:23], s[16:17], exec
	s_waitcnt vmcnt(0) lgkmcnt(0)
	v_lshlrev_b32_e32 v5, 23, v2
	v_cmp_ne_u32_e32 vcc, s24, v2
	v_cndmask_b32_e32 v3, v3, v5, vcc
	v_cmp_ne_u32_e32 vcc, 0, v2
	v_cndmask_b32_e32 v5, v4, v3, vcc
	s_xor_b64 s[24:25], exec, -1
.LBB20_11:
	s_or_b64 exec, exec, s[20:21]
	s_andn2_b64 s[16:17], s[16:17], exec
	s_and_b64 s[20:21], s[22:23], exec
	s_or_b64 s[16:17], s[16:17], s[20:21]
	s_andn2_b64 s[14:15], s[14:15], exec
	s_and_b64 s[20:21], s[24:25], exec
	s_or_b64 s[14:15], s[14:15], s[20:21]
.LBB20_12:
	s_or_b64 exec, exec, s[18:19]
	s_and_b64 s[18:19], s[16:17], exec
	s_and_b64 s[16:17], s[14:15], exec
                                        ; implicit-def: $vgpr3
.LBB20_13:
	s_andn2_saveexec_b64 s[12:13], s[12:13]
	s_cbranch_execz .LBB20_17
; %bb.14:
	v_mov_b32_e32 v2, 29
	v_cmp_eq_u16_sdwa s[24:25], v3, v2 src0_sel:BYTE_0 src1_sel:DWORD
	s_mov_b64 s[20:21], -1
	s_mov_b64 s[22:23], s[18:19]
                                        ; implicit-def: $vgpr5
	s_and_saveexec_b64 s[14:15], s[24:25]
	s_cbranch_execz .LBB20_16
; %bb.15:
	flat_load_dwordx2 v[2:3], v[0:1]
	s_or_b64 s[22:23], s[18:19], exec
	s_xor_b64 s[20:21], exec, -1
	s_waitcnt vmcnt(0) lgkmcnt(0)
	v_ffbh_u32_e32 v4, v3
	v_min_u32_e32 v4, 32, v4
	v_lshlrev_b64 v[2:3], v4, v[2:3]
	v_min_u32_e32 v2, 1, v2
	v_or_b32_e32 v2, v3, v2
	v_cvt_f32_u32_e32 v2, v2
	v_sub_u32_e32 v3, 32, v4
	v_ldexp_f32 v5, v2, v3
.LBB20_16:
	s_or_b64 exec, exec, s[14:15]
	s_andn2_b64 s[14:15], s[18:19], exec
	s_and_b64 s[18:19], s[22:23], exec
	s_or_b64 s[18:19], s[14:15], s[18:19]
	s_andn2_b64 s[14:15], s[16:17], exec
	s_and_b64 s[16:17], s[20:21], exec
	s_or_b64 s[16:17], s[14:15], s[16:17]
.LBB20_17:
	s_or_b64 exec, exec, s[12:13]
	s_and_b64 s[14:15], s[18:19], exec
	s_and_b64 s[12:13], s[16:17], exec
                                        ; implicit-def: $vgpr3
.LBB20_18:
	s_andn2_saveexec_b64 s[8:9], s[8:9]
	s_cbranch_execz .LBB20_34
; %bb.19:
	v_mov_b32_e32 v2, 26
	v_cmp_gt_i16_sdwa s[16:17], v3, v2 src0_sel:BYTE_0 src1_sel:DWORD
                                        ; implicit-def: $vgpr5
	s_and_saveexec_b64 s[18:19], s[16:17]
	s_xor_b64 s[16:17], exec, s[18:19]
	s_cbranch_execz .LBB20_25
; %bb.20:
	v_mov_b32_e32 v2, 27
	v_cmp_gt_i16_sdwa s[18:19], v3, v2 src0_sel:BYTE_0 src1_sel:DWORD
                                        ; implicit-def: $vgpr5
	s_and_saveexec_b64 s[20:21], s[18:19]
	s_xor_b64 s[18:19], exec, s[20:21]
	s_cbranch_execz .LBB20_22
; %bb.21:
	flat_load_dword v2, v[0:1]
	s_waitcnt vmcnt(0) lgkmcnt(0)
	v_cvt_f32_u32_e32 v5, v2
.LBB20_22:
	s_andn2_saveexec_b64 s[18:19], s[18:19]
	s_cbranch_execz .LBB20_24
; %bb.23:
	flat_load_ushort v2, v[0:1]
	s_waitcnt vmcnt(0) lgkmcnt(0)
	v_cvt_f32_u32_e32 v5, v2
.LBB20_24:
	s_or_b64 exec, exec, s[18:19]
.LBB20_25:
	s_andn2_saveexec_b64 s[16:17], s[16:17]
	s_cbranch_execz .LBB20_33
; %bb.26:
	flat_load_ubyte v2, v[0:1]
	s_movk_i32 s18, 0x7f
                                        ; implicit-def: $sgpr24
	s_waitcnt vmcnt(0) lgkmcnt(0)
	v_cmp_lt_i16_e32 vcc, s18, v2
	s_mov_b64 s[18:19], 0
	s_and_saveexec_b64 s[20:21], vcc
	s_xor_b64 s[20:21], exec, s[20:21]
	s_cbranch_execz .LBB20_123
; %bb.27:
	s_movk_i32 s18, 0x80
	v_cmp_eq_u16_e32 vcc, s18, v2
	s_mov_b64 s[18:19], -1
                                        ; implicit-def: $sgpr24
	s_and_saveexec_b64 s[22:23], vcc
; %bb.28:
	s_mov_b32 s24, 0x7f800001
	s_xor_b64 s[18:19], exec, -1
; %bb.29:
	s_or_b64 exec, exec, s[22:23]
	s_and_b64 s[18:19], s[18:19], exec
	s_or_saveexec_b64 s[20:21], s[20:21]
	v_mov_b32_e32 v5, s24
	s_xor_b64 exec, exec, s[20:21]
	s_cbranch_execnz .LBB20_124
.LBB20_30:
	s_or_b64 exec, exec, s[20:21]
	s_and_saveexec_b64 s[20:21], s[18:19]
	s_cbranch_execz .LBB20_32
.LBB20_31:
	v_lshlrev_b32_e32 v3, 24, v2
	v_and_b32_e32 v2, 0xffff, v2
	v_and_b32_e32 v4, 7, v2
	v_ffbh_u32_e32 v6, v4
	v_min_u32_e32 v6, 32, v6
	v_subrev_u32_e32 v7, 28, v6
	v_bfe_u32 v5, v2, 3, 4
	v_lshlrev_b32_e32 v2, v7, v2
	v_sub_u32_e32 v6, 29, v6
	v_and_b32_e32 v2, 7, v2
	v_cmp_eq_u32_e32 vcc, 0, v5
	v_cndmask_b32_e32 v5, v5, v6, vcc
	v_cndmask_b32_e32 v2, v4, v2, vcc
	v_mov_b32_e32 v4, 0x3b800000
	v_lshlrev_b32_e32 v2, 20, v2
	v_and_b32_e32 v3, 0x80000000, v3
	v_lshl_add_u32 v4, v5, 23, v4
	v_or3_b32 v5, v3, v4, v2
.LBB20_32:
	s_or_b64 exec, exec, s[20:21]
.LBB20_33:
	s_or_b64 exec, exec, s[16:17]
	s_or_b64 s[14:15], s[14:15], exec
.LBB20_34:
	s_or_b64 exec, exec, s[8:9]
	s_and_b64 s[8:9], s[14:15], exec
	s_and_b64 s[12:13], s[12:13], exec
                                        ; implicit-def: $vgpr3
	s_andn2_saveexec_b64 s[10:11], s[10:11]
	s_cbranch_execnz .LBB20_97
.LBB20_35:
	s_or_b64 exec, exec, s[10:11]
	s_and_saveexec_b64 s[10:11], s[12:13]
	s_cbranch_execnz .LBB20_122
.LBB20_36:
	s_or_b64 exec, exec, s[10:11]
	s_and_saveexec_b64 s[10:11], s[6:7]
	s_xor_b64 s[6:7], exec, s[10:11]
	s_cbranch_execz .LBB20_38
.LBB20_37:
	flat_load_ubyte v0, v[0:1]
	s_or_b64 s[8:9], s[8:9], exec
	s_waitcnt vmcnt(0) lgkmcnt(0)
	v_cmp_ne_u16_e32 vcc, 0, v0
	v_cndmask_b32_e64 v5, 0, 1.0, vcc
.LBB20_38:
	s_or_b64 exec, exec, s[6:7]
	s_and_b64 s[6:7], s[8:9], exec
                                        ; implicit-def: $vgpr3
                                        ; implicit-def: $vgpr0_vgpr1
	s_andn2_saveexec_b64 s[4:5], s[4:5]
	s_cbranch_execnz .LBB20_54
.LBB20_39:
	s_or_b64 exec, exec, s[4:5]
                                        ; implicit-def: $vgpr0
	s_and_saveexec_b64 s[10:11], s[6:7]
	s_cbranch_execz .LBB20_95
.LBB20_40:
	s_mov_b32 s4, 0x7f800000
	s_waitcnt vmcnt(0) lgkmcnt(0)
	v_cmp_neq_f32_e64 s[4:5], |v5|, s4
	v_mov_b32_e32 v0, 0x7fc00000
	s_and_saveexec_b64 s[12:13], s[4:5]
	s_cbranch_execz .LBB20_134
; %bb.41:
	s_mov_b32 s4, 0x42cfc8b4
	v_cmp_nlt_f32_e32 vcc, s4, v5
	v_mov_b32_e32 v0, 0
	s_and_saveexec_b64 s[14:15], vcc
	s_cbranch_execz .LBB20_133
; %bb.42:
	s_mov_b32 s4, 0xc005c28f
	v_cmp_ngt_f32_e32 vcc, s4, v5
                                        ; implicit-def: $vgpr0
	s_and_saveexec_b64 s[4:5], vcc
	s_xor_b64 s[6:7], exec, s[4:5]
	s_cbranch_execz .LBB20_50
; %bb.43:
	s_mov_b32 s4, 0x4005c28f
	v_cmp_nle_f32_e64 s[8:9], s4, v5
	v_cmp_le_f32_e32 vcc, s4, v5
	v_mov_b32_e32 v0, 0
	s_mov_b64 s[4:5], s[8:9]
	s_and_saveexec_b64 s[16:17], vcc
	s_cbranch_execz .LBB20_45
; %bb.44:
	s_mov_b32 s18, 0xf800000
	v_mul_f32_e32 v0, 0x4f800000, v5
	v_cmp_gt_f32_e32 vcc, s18, v5
	v_cndmask_b32_e32 v0, v5, v0, vcc
	v_sqrt_f32_e32 v1, v0
	v_add_f32_e32 v2, v5, v5
	s_mov_b32 s19, 0x40400000
	v_add_u32_e32 v3, -1, v1
	v_fma_f32 v4, -v3, v1, v0
	v_cmp_ge_f32_e64 s[4:5], 0, v4
	v_add_u32_e32 v4, 1, v1
	v_cndmask_b32_e64 v3, v1, v3, s[4:5]
	v_fma_f32 v1, -v4, v1, v0
	v_cmp_lt_f32_e64 s[4:5], 0, v1
	v_cndmask_b32_e64 v1, v3, v4, s[4:5]
	v_mul_f32_e32 v3, 0x37800000, v1
	v_cndmask_b32_e32 v1, v1, v3, vcc
	v_mov_b32_e32 v3, 0x260
	v_cmp_class_f32_e32 vcc, v0, v3
	v_cndmask_b32_e32 v0, v1, v0, vcc
	v_mul_f32_e32 v1, v2, v0
	v_div_scale_f32 v2, s[4:5], s19, s19, v1
	v_rcp_f32_e32 v4, v2
	v_fma_f32 v6, -v2, v4, 1.0
	v_fmac_f32_e32 v4, v6, v4
	v_div_scale_f32 v6, vcc, v1, s19, v1
	v_mul_f32_e32 v7, v6, v4
	v_fma_f32 v8, -v2, v7, v6
	v_fmac_f32_e32 v7, v8, v4
	v_fma_f32 v2, -v2, v7, v6
	v_div_fmas_f32 v2, v2, v4, v7
	v_div_fixup_f32 v2, v2, s19, v1
	v_div_scale_f32 v1, s[4:5], v2, v2, 1.0
	v_rcp_f32_e32 v4, v1
	v_fma_f32 v6, -v1, v4, 1.0
	v_fmac_f32_e32 v4, v6, v4
	v_div_scale_f32 v6, vcc, 1.0, v2, 1.0
	v_mul_f32_e32 v7, v6, v4
	v_fma_f32 v8, -v1, v7, v6
	v_fmac_f32_e32 v7, v8, v4
	v_fma_f32 v1, -v1, v7, v6
	v_div_fmas_f32 v1, v1, v4, v7
	v_div_fixup_f32 v1, v1, v2, 1.0
	v_mov_b32_e32 v4, 0x3eb16d71
	v_fmac_f32_e32 v4, 0, v1
	v_mov_b32_e32 v6, 0x41401f1c
	v_fmac_f32_e32 v6, v1, v4
	;; [unrolled: 2-line block ×14, first 2 shown]
	v_fma_f32 v6, v1, v6, 1.0
	v_fma_f32 v1, v1, v4, 1.0
	v_div_scale_f32 v4, s[4:5], v6, v6, v1
	v_rcp_f32_e32 v7, v4
	v_cmp_gt_f32_e64 s[4:5], s18, v0
	v_fma_f32 v8, -v4, v7, 1.0
	v_fmac_f32_e32 v7, v8, v7
	v_div_scale_f32 v8, vcc, v1, v6, v1
	v_mul_f32_e32 v9, v8, v7
	v_fma_f32 v10, -v4, v9, v8
	v_fmac_f32_e32 v9, v10, v7
	v_fma_f32 v4, -v4, v9, v8
	v_mul_f32_e32 v8, 0x4f800000, v0
	v_cndmask_b32_e64 v8, v0, v8, s[4:5]
	v_sqrt_f32_e32 v10, v8
	v_div_fmas_f32 v0, v4, v7, v9
	v_div_fixup_f32 v0, v0, v6, v1
	v_add_u32_e32 v1, -1, v10
	v_fma_f32 v4, -v1, v10, v8
	v_cmp_ge_f32_e32 vcc, 0, v4
	v_add_u32_e32 v4, 1, v10
	v_fma_f32 v6, -v4, v10, v8
	v_cndmask_b32_e32 v1, v10, v1, vcc
	v_cmp_lt_f32_e32 vcc, 0, v6
	v_cndmask_b32_e32 v1, v1, v4, vcc
	v_mul_f32_e32 v4, 0x37800000, v1
	v_cndmask_b32_e64 v1, v1, v4, s[4:5]
	v_cmp_class_f32_e32 vcc, v8, v3
	s_mov_b32 s4, 0x3fb8aa3b
	v_mul_f32_e32 v3, 0x3fb8aa3b, v2
	v_fma_f32 v4, v2, s4, -v3
	v_rndne_f32_e32 v6, v3
	v_fmac_f32_e32 v4, 0x32a5705f, v2
	v_sub_f32_e32 v3, v3, v6
	v_add_f32_e32 v3, v3, v4
	v_exp_f32_e32 v3, v3
	v_cvt_i32_f32_e32 v4, v6
	s_mov_b32 s4, 0x3f106ebb
	v_cndmask_b32_e32 v1, v1, v8, vcc
	s_mov_b32 s5, 2.0
	v_pk_mul_f32 v[0:1], v[0:1], s[4:5]
	s_mov_b32 s4, 0xc2ce8ed0
	v_ldexp_f32 v3, v3, v4
	v_cmp_ngt_f32_e32 vcc, s4, v2
	s_mov_b32 s4, 0x42b17218
	v_cndmask_b32_e32 v3, 0, v3, vcc
	v_mov_b32_e32 v4, 0x7f800000
	v_cmp_nlt_f32_e32 vcc, s4, v2
	v_cndmask_b32_e32 v2, v4, v3, vcc
	v_mul_f32_e32 v1, v1, v2
	v_div_scale_f32 v2, s[4:5], v1, v1, v0
	v_rcp_f32_e32 v3, v2
	s_mov_b32 s4, 0x41052018
	v_fma_f32 v4, -v2, v3, 1.0
	v_fmac_f32_e32 v3, v4, v3
	v_div_scale_f32 v4, vcc, v0, v1, v0
	v_mul_f32_e32 v6, v4, v3
	v_fma_f32 v7, -v2, v6, v4
	v_fmac_f32_e32 v6, v7, v3
	v_fma_f32 v2, -v2, v6, v4
	v_div_fmas_f32 v2, v2, v3, v6
	v_cmp_nlt_f32_e32 vcc, s4, v5
	s_andn2_b64 s[4:5], s[8:9], exec
	s_and_b64 s[18:19], vcc, exec
	v_div_fixup_f32 v0, v2, v1, v0
	s_or_b64 s[4:5], s[4:5], s[18:19]
.LBB20_45:
	s_or_b64 exec, exec, s[16:17]
	s_and_saveexec_b64 s[16:17], s[4:5]
	s_cbranch_execz .LBB20_49
; %bb.46:
	v_mul_f32_e32 v1, v5, v5
	v_mul_f32_e32 v2, v5, v1
	v_mov_b32_e32 v1, 1.0
	v_mov_b32_e32 v3, v2
	s_mov_b64 s[18:19], 0
	s_brev_b32 s20, 44
	v_mov_b32_e32 v4, v1
	v_mov_b32_e32 v6, 1.0
	v_mov_b32_e32 v7, v5
.LBB20_47:                              ; =>This Inner Loop Header: Depth=1
	v_pk_mul_f32 v[6:7], v[2:3], v[6:7]
	v_add_f32_e32 v8, 1.0, v1
	v_add_f32_e32 v9, 1.0, v8
	v_div_scale_f32 v10, s[4:5], v8, v8, v6
	v_rcp_f32_e32 v12, v10
	v_div_scale_f32 v13, s[4:5], v9, v9, v7
	v_rcp_f32_e32 v15, v13
	v_fma_f32 v16, -v10, v12, 1.0
	v_div_scale_f32 v11, vcc, v6, v8, v6
	v_fmac_f32_e32 v12, v16, v12
	v_fma_f32 v16, -v13, v15, 1.0
	v_div_scale_f32 v14, s[4:5], v7, v9, v7
	v_mul_f32_e32 v17, v11, v12
	v_fmac_f32_e32 v15, v16, v15
	v_fma_f32 v16, -v10, v17, v11
	v_mul_f32_e32 v18, v14, v15
	v_fmac_f32_e32 v17, v16, v12
	v_fma_f32 v16, -v13, v18, v14
	v_fma_f32 v10, -v10, v17, v11
	v_fmac_f32_e32 v18, v16, v15
	v_div_fmas_f32 v10, v10, v12, v17
	v_fma_f32 v11, -v13, v18, v14
	s_mov_b64 vcc, s[4:5]
	v_div_fixup_f32 v6, v10, v8, v6
	v_div_fmas_f32 v8, v11, v15, v18
	v_add_f32_e32 v1, 1.0, v9
	v_div_fixup_f32 v7, v8, v9, v7
	v_div_scale_f32 v8, s[4:5], v9, v9, v6
	v_div_scale_f32 v11, s[22:23], v1, v1, v7
	v_rcp_f32_e32 v13, v8
	v_rcp_f32_e32 v14, v11
	v_div_scale_f32 v10, s[4:5], v6, v9, v6
	v_fma_f32 v15, -v8, v13, 1.0
	v_fma_f32 v16, -v11, v14, 1.0
	v_div_scale_f32 v12, vcc, v7, v1, v7
	v_fmac_f32_e32 v13, v15, v13
	v_fmac_f32_e32 v14, v16, v14
	v_mul_f32_e32 v15, v10, v13
	v_mul_f32_e32 v16, v12, v14
	v_fma_f32 v17, -v8, v15, v10
	v_fma_f32 v18, -v11, v16, v12
	v_fmac_f32_e32 v15, v17, v13
	v_fmac_f32_e32 v16, v18, v14
	v_fma_f32 v8, -v8, v15, v10
	v_fma_f32 v10, -v11, v16, v12
	v_div_fmas_f32 v10, v10, v14, v16
	s_mov_b64 vcc, s[4:5]
	v_div_fmas_f32 v8, v8, v13, v15
	v_div_fixup_f32 v7, v10, v1, v7
	v_div_fixup_f32 v6, v8, v9, v6
	v_pk_add_f32 v[4:5], v[4:5], v[6:7]
	v_div_scale_f32 v8, s[4:5], v4, v4, v6
	v_rcp_f32_e32 v9, v8
	v_div_scale_f32 v10, vcc, v6, v4, v6
	v_fma_f32 v11, -v8, v9, 1.0
	v_fmac_f32_e32 v9, v11, v9
	v_mul_f32_e32 v11, v10, v9
	v_fma_f32 v12, -v8, v11, v10
	v_fmac_f32_e32 v11, v12, v9
	v_fma_f32 v8, -v8, v11, v10
	v_div_fmas_f32 v8, v8, v9, v11
	v_div_fixup_f32 v8, v8, v4, v6
	v_cmp_ngt_f32_e64 s[4:5], |v8|, s20
	s_or_b64 s[18:19], s[4:5], s[18:19]
	s_andn2_b64 exec, exec, s[18:19]
	s_cbranch_execnz .LBB20_47
; %bb.48:
	s_or_b64 exec, exec, s[18:19]
	s_mov_b32 s4, 0x3eb5c63d
	s_mov_b32 s5, 0x3e8483fa
	v_pk_mul_f32 v[2:3], v[4:5], s[4:5]
	v_sub_f32_e32 v1, v2, v3
	v_cndmask_b32_e64 v0, v0, v1, s[8:9]
.LBB20_49:
	s_or_b64 exec, exec, s[16:17]
                                        ; implicit-def: $vgpr5
.LBB20_50:
	s_andn2_saveexec_b64 s[16:17], s[6:7]
	s_cbranch_execz .LBB20_132
; %bb.51:
	s_mov_b32 s4, 0x8f800000
	v_mul_f32_e32 v0, 0xcf800000, v5
	v_cmp_lt_f32_e32 vcc, s4, v5
	v_cndmask_b32_e64 v0, -v5, v0, vcc
	v_sqrt_f32_e32 v1, v0
	v_mul_f32_e32 v2, -2.0, v5
	s_mov_b32 s6, 0x40400000
	v_add_u32_e32 v3, -1, v1
	v_fma_f32 v4, -v3, v1, v0
	v_cmp_ge_f32_e64 s[4:5], 0, v4
	v_add_u32_e32 v4, 1, v1
	v_cndmask_b32_e64 v3, v1, v3, s[4:5]
	v_fma_f32 v1, -v4, v1, v0
	v_cmp_lt_f32_e64 s[4:5], 0, v1
	v_cndmask_b32_e64 v1, v3, v4, s[4:5]
	v_mul_f32_e32 v3, 0x37800000, v1
	v_cndmask_b32_e32 v1, v1, v3, vcc
	v_mov_b32_e32 v3, 0x260
	v_cmp_class_f32_e32 vcc, v0, v3
	v_cndmask_b32_e32 v0, v1, v0, vcc
	v_mul_f32_e32 v1, v2, v0
	v_div_scale_f32 v2, s[4:5], s6, s6, v1
	v_rcp_f32_e32 v3, v2
	s_brev_b32 s4, 18
	v_fma_f32 v4, -v2, v3, 1.0
	v_fmac_f32_e32 v3, v4, v3
	v_div_scale_f32 v4, vcc, v1, s6, v1
	v_mul_f32_e32 v5, v4, v3
	v_fma_f32 v6, -v2, v5, v4
	v_fmac_f32_e32 v5, v6, v3
	v_fma_f32 v2, -v2, v5, v4
	v_div_fmas_f32 v2, v2, v3, v5
	v_div_fixup_f32 v3, v2, s6, v1
	v_add_f32_e32 v1, 0x3f490fdb, v3
	v_and_b32_e32 v2, 0x7fffffff, v1
	v_cmp_nlt_f32_e64 s[18:19], |v1|, s4
	v_lshrrev_b32_e32 v8, 23, v2
                                        ; implicit-def: $vgpr4
                                        ; implicit-def: $vgpr5
	s_and_saveexec_b64 s[4:5], s[18:19]
	s_xor_b64 s[20:21], exec, s[4:5]
	s_cbranch_execz .LBB20_125
; %bb.52:
	v_add_u32_e32 v4, 0xffffff88, v8
	v_not_b32_e32 v6, 63
	v_cmp_lt_u32_e32 vcc, 63, v4
	v_cndmask_b32_e32 v6, 0, v6, vcc
	v_add_u32_e32 v4, v6, v4
	v_not_b32_e32 v6, 31
	v_cmp_lt_u32_e64 s[4:5], 31, v4
	v_cndmask_b32_e64 v7, 0, v6, s[4:5]
	v_add_u32_e32 v4, v7, v4
	v_cmp_lt_u32_e64 s[6:7], 31, v4
	v_cndmask_b32_e64 v6, 0, v6, s[6:7]
	v_add_u32_e32 v9, v6, v4
	v_and_b32_e32 v4, 0x7fffff, v2
	v_or_b32_e32 v20, 0x800000, v4
	s_mov_b32 s8, 0xfe5163ab
	v_mad_u64_u32 v[6:7], s[8:9], v20, s8, 0
	v_mov_b32_e32 v5, 0
	v_mov_b32_e32 v4, v7
	s_mov_b32 s8, 0x3c439041
	v_mad_u64_u32 v[10:11], s[8:9], v20, s8, v[4:5]
	v_mov_b32_e32 v4, v11
	s_mov_b32 s8, 0xdb629599
	v_mad_u64_u32 v[12:13], s[8:9], v20, s8, v[4:5]
	;; [unrolled: 3-line block ×6, first 2 shown]
	v_cndmask_b32_e32 v7, v18, v14, vcc
	v_cndmask_b32_e32 v4, v4, v16, vcc
	;; [unrolled: 1-line block ×3, first 2 shown]
	v_cndmask_b32_e64 v11, v4, v7, s[4:5]
	v_cndmask_b32_e64 v4, v5, v4, s[4:5]
	v_cndmask_b32_e32 v5, v16, v12, vcc
	v_cndmask_b32_e64 v7, v7, v5, s[4:5]
	v_sub_u32_e32 v13, 32, v9
	v_cmp_eq_u32_e64 s[8:9], 0, v9
	v_cndmask_b32_e32 v9, v14, v10, vcc
	v_cndmask_b32_e64 v4, v4, v11, s[6:7]
	v_cndmask_b32_e64 v11, v11, v7, s[6:7]
	;; [unrolled: 1-line block ×3, first 2 shown]
	v_alignbit_b32 v15, v4, v11, v13
	v_cndmask_b32_e64 v7, v7, v5, s[6:7]
	v_cndmask_b32_e64 v4, v15, v4, s[8:9]
	v_alignbit_b32 v10, v11, v7, v13
	v_cndmask_b32_e64 v10, v10, v11, s[8:9]
	v_bfe_u32 v15, v4, 29, 1
	v_cndmask_b32_e32 v6, v12, v6, vcc
	v_alignbit_b32 v11, v4, v10, 30
	v_sub_u32_e32 v16, 0, v15
	v_cndmask_b32_e64 v6, v9, v6, s[4:5]
	v_xor_b32_e32 v17, v11, v16
	v_cndmask_b32_e64 v5, v5, v6, s[6:7]
	v_alignbit_b32 v6, v7, v5, v13
	v_ffbh_u32_e32 v9, v17
	v_cndmask_b32_e64 v6, v6, v7, s[8:9]
	v_add_u32_e32 v9, 1, v9
	v_cmp_ne_u32_e32 vcc, v11, v16
	v_alignbit_b32 v7, v10, v6, 30
	v_cndmask_b32_e32 v9, 33, v9, vcc
	v_alignbit_b32 v5, v6, v5, 30
	v_xor_b32_e32 v7, v7, v16
	v_sub_u32_e32 v10, 32, v9
	v_xor_b32_e32 v5, v5, v16
	v_alignbit_b32 v11, v17, v7, v10
	v_alignbit_b32 v5, v7, v5, v10
	;; [unrolled: 1-line block ×3, first 2 shown]
	v_ffbh_u32_e32 v7, v6
	v_min_u32_e32 v7, 32, v7
	v_lshrrev_b32_e32 v14, 29, v4
	v_sub_u32_e32 v10, 31, v7
	v_alignbit_b32 v5, v6, v5, v10
	v_lshlrev_b32_e32 v6, 31, v14
	v_or_b32_e32 v10, 0x33800000, v6
	v_add_lshl_u32 v7, v7, v9, 23
	v_lshrrev_b32_e32 v5, 9, v5
	v_sub_u32_e32 v7, v10, v7
	v_or_b32_e32 v5, v7, v5
	v_alignbit_b32 v7, v9, v11, 9
	v_or_b32_e32 v6, v7, v6
	v_xor_b32_e32 v6, 1.0, v6
	s_mov_b32 s4, 0x3fc90fda
	v_mul_f32_e32 v7, 0x3fc90fda, v6
	v_fma_f32 v9, v6, s4, -v7
	v_fmac_f32_e32 v9, 0x33a22168, v6
	v_fmac_f32_e32 v9, 0x3fc90fda, v5
	v_lshrrev_b32_e32 v4, 30, v4
	v_add_f32_e32 v5, v7, v9
	v_add_u32_e32 v4, v15, v4
	s_andn2_saveexec_b64 s[4:5], s[20:21]
	s_branch .LBB20_126
.LBB20_53:
	s_andn2_saveexec_b64 s[4:5], s[4:5]
	s_cbranch_execz .LBB20_39
.LBB20_54:
	v_mov_b32_e32 v2, 4
	v_cmp_gt_i16_sdwa s[8:9], v3, v2 src0_sel:BYTE_0 src1_sel:DWORD
                                        ; implicit-def: $vgpr5
	s_and_saveexec_b64 s[10:11], s[8:9]
	s_xor_b64 s[8:9], exec, s[10:11]
	s_cbranch_execz .LBB20_76
; %bb.55:
	v_mov_b32_e32 v2, 7
	v_cmp_gt_i16_sdwa s[10:11], v3, v2 src0_sel:BYTE_0 src1_sel:DWORD
                                        ; implicit-def: $vgpr5
	s_and_saveexec_b64 s[12:13], s[10:11]
	s_xor_b64 s[10:11], exec, s[12:13]
	s_cbranch_execz .LBB20_65
; %bb.56:
	;; [unrolled: 7-line block ×4, first 2 shown]
	flat_load_dwordx2 v[0:1], v[0:1]
	s_waitcnt vmcnt(0) lgkmcnt(0)
	v_cvt_f32_f64_e32 v5, v[0:1]
                                        ; implicit-def: $vgpr0_vgpr1
.LBB20_59:
	s_andn2_saveexec_b64 s[14:15], s[14:15]
	s_cbranch_execz .LBB20_61
; %bb.60:
	flat_load_dword v5, v[0:1]
.LBB20_61:
	s_or_b64 exec, exec, s[14:15]
                                        ; implicit-def: $vgpr0_vgpr1
.LBB20_62:
	s_andn2_saveexec_b64 s[12:13], s[12:13]
	s_cbranch_execz .LBB20_64
; %bb.63:
	flat_load_dword v0, v[0:1]
	s_waitcnt vmcnt(0) lgkmcnt(0)
	v_cvt_f32_f16_e32 v5, v0
.LBB20_64:
	s_or_b64 exec, exec, s[12:13]
                                        ; implicit-def: $vgpr0_vgpr1
                                        ; implicit-def: $vgpr3
.LBB20_65:
	s_andn2_saveexec_b64 s[10:11], s[10:11]
	s_cbranch_execz .LBB20_75
; %bb.66:
	v_mov_b32_e32 v2, 5
	v_cmp_gt_i16_sdwa s[12:13], v3, v2 src0_sel:BYTE_0 src1_sel:DWORD
                                        ; implicit-def: $vgpr5
	s_and_saveexec_b64 s[14:15], s[12:13]
	s_xor_b64 s[12:13], exec, s[14:15]
	s_cbranch_execz .LBB20_72
; %bb.67:
	v_mov_b32_e32 v2, 6
	v_cmp_gt_i16_sdwa s[14:15], v3, v2 src0_sel:BYTE_0 src1_sel:DWORD
                                        ; implicit-def: $vgpr5
	s_and_saveexec_b64 s[16:17], s[14:15]
	s_xor_b64 s[14:15], exec, s[16:17]
	s_cbranch_execz .LBB20_69
; %bb.68:
	flat_load_dwordx2 v[0:1], v[0:1]
	s_waitcnt vmcnt(0) lgkmcnt(0)
	v_cvt_f32_f64_e32 v5, v[0:1]
                                        ; implicit-def: $vgpr0_vgpr1
.LBB20_69:
	s_andn2_saveexec_b64 s[14:15], s[14:15]
	s_cbranch_execz .LBB20_71
; %bb.70:
	s_waitcnt vmcnt(0) lgkmcnt(0)
	flat_load_dword v5, v[0:1]
.LBB20_71:
	s_or_b64 exec, exec, s[14:15]
                                        ; implicit-def: $vgpr0_vgpr1
.LBB20_72:
	s_andn2_saveexec_b64 s[12:13], s[12:13]
	s_cbranch_execz .LBB20_74
; %bb.73:
	flat_load_ushort v0, v[0:1]
	s_waitcnt vmcnt(0) lgkmcnt(0)
	v_cvt_f32_f16_e32 v5, v0
.LBB20_74:
	s_or_b64 exec, exec, s[12:13]
.LBB20_75:
	s_or_b64 exec, exec, s[10:11]
                                        ; implicit-def: $vgpr3
                                        ; implicit-def: $vgpr0_vgpr1
.LBB20_76:
	s_andn2_saveexec_b64 s[8:9], s[8:9]
	s_cbranch_execz .LBB20_94
; %bb.77:
	v_mov_b32_e32 v2, 1
	v_cmp_gt_i16_sdwa s[10:11], v3, v2 src0_sel:BYTE_0 src1_sel:DWORD
                                        ; implicit-def: $vgpr5
	s_and_saveexec_b64 s[12:13], s[10:11]
	s_xor_b64 s[10:11], exec, s[12:13]
	s_cbranch_execz .LBB20_87
; %bb.78:
	v_mov_b32_e32 v2, 2
	v_cmp_gt_i16_sdwa s[12:13], v3, v2 src0_sel:BYTE_0 src1_sel:DWORD
                                        ; implicit-def: $vgpr5
	s_and_saveexec_b64 s[14:15], s[12:13]
	s_xor_b64 s[12:13], exec, s[14:15]
	;; [unrolled: 7-line block ×3, first 2 shown]
	s_cbranch_execz .LBB20_81
; %bb.80:
	flat_load_dwordx2 v[0:1], v[0:1]
	s_waitcnt vmcnt(0) lgkmcnt(0)
	v_xor_b32_e32 v3, v0, v1
	v_ffbh_i32_e32 v2, v1
	v_ashrrev_i32_e32 v3, 31, v3
	v_add_u32_e32 v2, -1, v2
	v_add_u32_e32 v3, 32, v3
	v_min_u32_e32 v2, v2, v3
	v_lshlrev_b64 v[0:1], v2, v[0:1]
	v_min_u32_e32 v0, 1, v0
	v_or_b32_e32 v0, v1, v0
	v_cvt_f32_i32_e32 v0, v0
	v_sub_u32_e32 v1, 32, v2
	v_ldexp_f32 v5, v0, v1
                                        ; implicit-def: $vgpr0_vgpr1
.LBB20_81:
	s_andn2_saveexec_b64 s[14:15], s[14:15]
	s_cbranch_execz .LBB20_83
; %bb.82:
	flat_load_dword v0, v[0:1]
	s_waitcnt vmcnt(0) lgkmcnt(0)
	v_cvt_f32_i32_e32 v5, v0
.LBB20_83:
	s_or_b64 exec, exec, s[14:15]
                                        ; implicit-def: $vgpr0_vgpr1
.LBB20_84:
	s_andn2_saveexec_b64 s[12:13], s[12:13]
	s_cbranch_execz .LBB20_86
; %bb.85:
	flat_load_sshort v0, v[0:1]
	s_waitcnt vmcnt(0) lgkmcnt(0)
	v_cvt_f32_i32_e32 v5, v0
.LBB20_86:
	s_or_b64 exec, exec, s[12:13]
                                        ; implicit-def: $vgpr0_vgpr1
                                        ; implicit-def: $vgpr3
.LBB20_87:
	s_andn2_saveexec_b64 s[10:11], s[10:11]
	s_cbranch_execz .LBB20_93
; %bb.88:
	v_mov_b32_e32 v2, 0
	v_cmp_gt_i16_sdwa s[12:13], v3, v2 src0_sel:BYTE_0 src1_sel:DWORD
                                        ; implicit-def: $vgpr5
	s_and_saveexec_b64 s[14:15], s[12:13]
	s_xor_b64 s[12:13], exec, s[14:15]
	s_cbranch_execz .LBB20_90
; %bb.89:
	flat_load_sbyte v0, v[0:1]
	s_waitcnt vmcnt(0) lgkmcnt(0)
	v_cvt_f32_i32_e32 v5, v0
                                        ; implicit-def: $vgpr0_vgpr1
.LBB20_90:
	s_andn2_saveexec_b64 s[12:13], s[12:13]
	s_cbranch_execz .LBB20_92
; %bb.91:
	flat_load_ubyte v0, v[0:1]
	s_waitcnt vmcnt(0) lgkmcnt(0)
	v_cvt_f32_ubyte0_e32 v5, v0
.LBB20_92:
	s_or_b64 exec, exec, s[12:13]
.LBB20_93:
	s_or_b64 exec, exec, s[10:11]
.LBB20_94:
	s_or_b64 exec, exec, s[8:9]
	s_or_b64 s[6:7], s[6:7], exec
	s_or_b64 exec, exec, s[4:5]
                                        ; implicit-def: $vgpr0
	s_and_saveexec_b64 s[10:11], s[6:7]
	s_cbranch_execnz .LBB20_40
.LBB20_95:
	s_or_b64 exec, exec, s[10:11]
	s_waitcnt vmcnt(0) lgkmcnt(0)
	s_setpc_b64 s[30:31]
.LBB20_96:
	s_andn2_saveexec_b64 s[10:11], s[10:11]
	s_cbranch_execz .LBB20_35
.LBB20_97:
	v_mov_b32_e32 v2, 22
	v_cmp_gt_i16_sdwa s[6:7], v3, v2 src0_sel:BYTE_0 src1_sel:DWORD
	s_mov_b64 s[14:15], s[8:9]
                                        ; implicit-def: $vgpr5
	s_and_saveexec_b64 s[16:17], s[6:7]
	s_xor_b64 s[6:7], exec, s[16:17]
	s_cbranch_execz .LBB20_113
; %bb.98:
	v_mov_b32_e32 v2, 23
	v_cmp_gt_i16_sdwa s[14:15], v3, v2 src0_sel:BYTE_0 src1_sel:DWORD
                                        ; implicit-def: $vgpr5
	s_and_saveexec_b64 s[16:17], s[14:15]
	s_xor_b64 s[14:15], exec, s[16:17]
	s_cbranch_execz .LBB20_110
; %bb.99:
	v_mov_b32_e32 v2, 24
	v_cmp_gt_i16_sdwa s[16:17], v3, v2 src0_sel:BYTE_0 src1_sel:DWORD
                                        ; implicit-def: $vgpr5
	s_and_saveexec_b64 s[18:19], s[16:17]
	s_xor_b64 s[16:17], exec, s[18:19]
	s_cbranch_execz .LBB20_107
; %bb.100:
	flat_load_ubyte v2, v[0:1]
	s_movk_i32 s18, 0x7f
                                        ; implicit-def: $sgpr24
	s_waitcnt vmcnt(0) lgkmcnt(0)
	v_cmp_lt_i16_e32 vcc, s18, v2
	s_mov_b64 s[18:19], 0
	s_and_saveexec_b64 s[20:21], vcc
	s_xor_b64 s[20:21], exec, s[20:21]
	s_cbranch_execz .LBB20_135
; %bb.101:
	s_movk_i32 s18, 0x80
	v_cmp_eq_u16_e32 vcc, s18, v2
	s_mov_b64 s[18:19], -1
                                        ; implicit-def: $sgpr24
	s_and_saveexec_b64 s[22:23], vcc
; %bb.102:
	s_mov_b32 s24, 0x7f800001
	s_xor_b64 s[18:19], exec, -1
; %bb.103:
	s_or_b64 exec, exec, s[22:23]
	s_and_b64 s[18:19], s[18:19], exec
	s_or_saveexec_b64 s[20:21], s[20:21]
	v_mov_b32_e32 v5, s24
	s_xor_b64 exec, exec, s[20:21]
	s_cbranch_execnz .LBB20_136
.LBB20_104:
	s_or_b64 exec, exec, s[20:21]
	s_and_saveexec_b64 s[20:21], s[18:19]
	s_cbranch_execz .LBB20_106
.LBB20_105:
	v_lshlrev_b32_e32 v3, 24, v2
	v_and_b32_e32 v2, 0xffff, v2
	v_and_b32_e32 v4, 3, v2
	v_ffbh_u32_e32 v6, v4
	v_min_u32_e32 v6, 32, v6
	v_subrev_u32_e32 v7, 29, v6
	v_bfe_u32 v5, v2, 2, 5
	v_lshlrev_b32_e32 v2, v7, v2
	v_sub_u32_e32 v6, 30, v6
	v_and_b32_e32 v2, 3, v2
	v_cmp_eq_u32_e32 vcc, 0, v5
	v_cndmask_b32_e32 v5, v5, v6, vcc
	v_cndmask_b32_e32 v2, v4, v2, vcc
	v_mov_b32_e32 v4, 0x37800000
	v_lshlrev_b32_e32 v2, 21, v2
	v_and_b32_e32 v3, 0x80000000, v3
	v_lshl_add_u32 v4, v5, 23, v4
	v_or3_b32 v5, v3, v4, v2
.LBB20_106:
	s_or_b64 exec, exec, s[20:21]
.LBB20_107:
	s_andn2_saveexec_b64 s[16:17], s[16:17]
	s_cbranch_execz .LBB20_109
; %bb.108:
	flat_load_ubyte v2, v[0:1]
	s_mov_b32 s18, 0x7f800000
	s_waitcnt vmcnt(0) lgkmcnt(0)
	v_lshlrev_b32_e32 v2, 24, v2
	v_and_b32_e32 v3, 0x7f000000, v2
	v_ffbh_u32_e32 v4, v3
	v_min_u32_e32 v4, 32, v4
	v_sub_u32_e64 v4, v4, 4 clamp
	v_lshlrev_b32_e32 v6, v4, v3
	v_lshlrev_b32_e32 v4, 23, v4
	v_lshrrev_b32_e32 v6, 4, v6
	v_add_u32_e32 v5, 0x1000000, v3
	v_sub_u32_e32 v4, v6, v4
	v_ashrrev_i32_e32 v5, 8, v5
	v_add_u32_e32 v4, 0x3c000000, v4
	v_and_or_b32 v4, v5, s18, v4
	v_cmp_ne_u32_e32 vcc, 0, v3
	v_cndmask_b32_e32 v3, 0, v4, vcc
	s_brev_b32 s18, 1
	v_and_or_b32 v5, v2, s18, v3
.LBB20_109:
	s_or_b64 exec, exec, s[16:17]
.LBB20_110:
	s_andn2_saveexec_b64 s[14:15], s[14:15]
	s_cbranch_execz .LBB20_112
; %bb.111:
	flat_load_ubyte v2, v[0:1]
	s_movk_i32 s16, 0x7f00
	s_brev_b32 s17, 16
	s_waitcnt vmcnt(0) lgkmcnt(0)
	v_lshlrev_b16_e32 v3, 8, v2
	v_lshlrev_b32_e32 v2, 25, v2
	v_lshrrev_b32_e32 v4, 4, v2
	v_and_or_b32 v5, v3, s16, 0.5
	v_or_b32_e32 v4, 0x70000000, v4
	v_add_f32_e32 v5, -0.5, v5
	v_mul_f32_e32 v4, 0x7800000, v4
	v_cmp_gt_u32_e32 vcc, s17, v2
	v_bfe_i32 v3, v3, 0, 16
	v_cndmask_b32_e32 v2, v4, v5, vcc
	s_brev_b32 s16, 1
	v_and_or_b32 v5, v3, s16, v2
.LBB20_112:
	s_or_b64 exec, exec, s[14:15]
	s_or_b64 s[14:15], s[8:9], exec
                                        ; implicit-def: $vgpr3
.LBB20_113:
	s_or_saveexec_b64 s[6:7], s[6:7]
	s_mov_b64 s[18:19], 0
	s_mov_b64 s[16:17], s[12:13]
	s_xor_b64 exec, exec, s[6:7]
	s_cbranch_execz .LBB20_121
; %bb.114:
	v_mov_b32_e32 v2, 14
	v_cmp_gt_i16_sdwa s[20:21], v3, v2 src0_sel:BYTE_0 src1_sel:DWORD
	s_mov_b64 s[16:17], s[12:13]
	s_mov_b64 s[18:19], s[14:15]
                                        ; implicit-def: $vgpr5
	s_and_saveexec_b64 s[22:23], s[20:21]
	s_xor_b64 s[20:21], exec, s[22:23]
	s_cbranch_execz .LBB20_118
; %bb.115:
	v_mov_b32_e32 v2, 15
	v_cmp_eq_u16_sdwa s[24:25], v3, v2 src0_sel:BYTE_0 src1_sel:DWORD
	s_mov_b64 s[16:17], -1
	s_mov_b64 s[18:19], s[14:15]
                                        ; implicit-def: $vgpr5
	s_and_saveexec_b64 s[22:23], s[24:25]
	s_cbranch_execz .LBB20_117
; %bb.116:
	flat_load_ushort v2, v[0:1]
	s_or_b64 s[18:19], s[14:15], exec
	s_xor_b64 s[16:17], exec, -1
	s_waitcnt vmcnt(0) lgkmcnt(0)
	v_lshlrev_b32_e32 v5, 16, v2
.LBB20_117:
	s_or_b64 exec, exec, s[22:23]
	s_andn2_b64 s[22:23], s[14:15], exec
	s_and_b64 s[18:19], s[18:19], exec
	s_or_b64 s[18:19], s[22:23], s[18:19]
	s_andn2_b64 s[22:23], s[12:13], exec
	s_and_b64 s[16:17], s[16:17], exec
	s_or_b64 s[16:17], s[22:23], s[16:17]
                                        ; implicit-def: $vgpr3
.LBB20_118:
	s_or_saveexec_b64 s[20:21], s[20:21]
	s_mov_b64 s[22:23], 0
	s_xor_b64 exec, exec, s[20:21]
; %bb.119:
	v_mov_b32_e32 v2, 11
	v_cmp_ne_u16_sdwa s[24:25], v3, v2 src0_sel:BYTE_0 src1_sel:DWORD
	s_andn2_b64 s[16:17], s[16:17], exec
	s_and_b64 s[24:25], s[24:25], exec
	s_mov_b64 s[22:23], exec
	s_or_b64 s[16:17], s[16:17], s[24:25]
                                        ; implicit-def: $vgpr5
; %bb.120:
	s_or_b64 exec, exec, s[20:21]
	s_andn2_b64 s[14:15], s[14:15], exec
	s_and_b64 s[18:19], s[18:19], exec
	s_andn2_b64 s[20:21], s[12:13], exec
	s_and_b64 s[16:17], s[16:17], exec
	s_or_b64 s[14:15], s[14:15], s[18:19]
	s_and_b64 s[18:19], s[22:23], exec
	s_or_b64 s[16:17], s[20:21], s[16:17]
.LBB20_121:
	s_or_b64 exec, exec, s[6:7]
	s_andn2_b64 s[6:7], s[8:9], exec
	s_and_b64 s[8:9], s[14:15], exec
	s_andn2_b64 s[12:13], s[12:13], exec
	s_and_b64 s[14:15], s[16:17], exec
	s_or_b64 s[8:9], s[6:7], s[8:9]
	s_and_b64 s[6:7], s[18:19], exec
	s_or_b64 s[12:13], s[12:13], s[14:15]
	s_or_b64 exec, exec, s[10:11]
	s_and_saveexec_b64 s[10:11], s[12:13]
	s_cbranch_execz .LBB20_36
.LBB20_122:
	s_trap 2
	; divergent unreachable
	s_andn2_b64 s[6:7], s[6:7], exec
                                        ; implicit-def: $vgpr5
	s_or_b64 exec, exec, s[10:11]
	s_and_saveexec_b64 s[10:11], s[6:7]
	s_xor_b64 s[6:7], exec, s[10:11]
	s_cbranch_execnz .LBB20_37
	s_branch .LBB20_38
.LBB20_123:
	s_or_saveexec_b64 s[20:21], s[20:21]
	v_mov_b32_e32 v5, s24
	s_xor_b64 exec, exec, s[20:21]
	s_cbranch_execz .LBB20_30
.LBB20_124:
	v_cmp_ne_u16_e32 vcc, 0, v2
	s_andn2_b64 s[18:19], s[18:19], exec
	s_and_b64 s[22:23], vcc, exec
	v_mov_b32_e32 v5, 0
	s_or_b64 s[18:19], s[18:19], s[22:23]
	s_or_b64 exec, exec, s[20:21]
	s_and_saveexec_b64 s[20:21], s[18:19]
	s_cbranch_execnz .LBB20_31
	s_branch .LBB20_32
.LBB20_125:
	s_andn2_saveexec_b64 s[4:5], s[20:21]
.LBB20_126:
	s_mov_b32 s6, 0x3f22f983
	v_mul_f32_e64 v4, |v1|, s6
	v_rndne_f32_e32 v6, v4
	s_mov_b32 s6, 0xbfc90fda
	v_cvt_i32_f32_e32 v4, v6
	v_fma_f32 v5, v6, s6, |v1|
	v_fmac_f32_e32 v5, 0xb3a22168, v6
	v_fmac_f32_e32 v5, 0xa7c234c4, v6
; %bb.127:
	s_or_b64 exec, exec, s[4:5]
                                        ; implicit-def: $vgpr6
                                        ; implicit-def: $vgpr7
	s_and_saveexec_b64 s[4:5], s[18:19]
	s_xor_b64 s[18:19], exec, s[4:5]
	s_cbranch_execz .LBB20_129
; %bb.128:
	v_add_u32_e32 v6, 0xffffff88, v8
	v_not_b32_e32 v8, 63
	v_cmp_lt_u32_e32 vcc, 63, v6
	v_cndmask_b32_e32 v8, 0, v8, vcc
	v_add_u32_e32 v6, v8, v6
	v_not_b32_e32 v8, 31
	v_cmp_lt_u32_e64 s[4:5], 31, v6
	v_cndmask_b32_e64 v9, 0, v8, s[4:5]
	v_add_u32_e32 v6, v9, v6
	v_cmp_lt_u32_e64 s[6:7], 31, v6
	v_cndmask_b32_e64 v8, 0, v8, s[6:7]
	v_add_u32_e32 v20, v8, v6
	v_and_b32_e32 v6, 0x7fffff, v2
	v_or_b32_e32 v21, 0x800000, v6
	s_mov_b32 s8, 0xfe5163ab
	v_mad_u64_u32 v[8:9], s[8:9], v21, s8, 0
	v_mov_b32_e32 v7, 0
	v_mov_b32_e32 v6, v9
	s_mov_b32 s8, 0x3c439041
	v_mad_u64_u32 v[10:11], s[8:9], v21, s8, v[6:7]
	v_mov_b32_e32 v6, v11
	s_mov_b32 s8, 0xdb629599
	v_mad_u64_u32 v[12:13], s[8:9], v21, s8, v[6:7]
	;; [unrolled: 3-line block ×6, first 2 shown]
	v_cndmask_b32_e32 v9, v18, v14, vcc
	v_cndmask_b32_e32 v6, v6, v16, vcc
	;; [unrolled: 1-line block ×3, first 2 shown]
	v_cndmask_b32_e64 v11, v6, v9, s[4:5]
	v_cndmask_b32_e64 v6, v7, v6, s[4:5]
	v_cndmask_b32_e32 v7, v16, v12, vcc
	v_cndmask_b32_e64 v9, v9, v7, s[4:5]
	v_cndmask_b32_e32 v10, v14, v10, vcc
	v_cndmask_b32_e64 v6, v6, v11, s[6:7]
	v_cndmask_b32_e64 v11, v11, v9, s[6:7]
	v_sub_u32_e32 v13, 32, v20
	v_cndmask_b32_e64 v7, v7, v10, s[4:5]
	v_alignbit_b32 v15, v6, v11, v13
	v_cmp_eq_u32_e64 s[8:9], 0, v20
	v_cndmask_b32_e64 v9, v9, v7, s[6:7]
	v_cndmask_b32_e64 v6, v15, v6, s[8:9]
	v_alignbit_b32 v14, v11, v9, v13
	v_cndmask_b32_e64 v11, v14, v11, s[8:9]
	v_bfe_u32 v16, v6, 29, 1
	v_cndmask_b32_e32 v8, v12, v8, vcc
	v_alignbit_b32 v14, v6, v11, 30
	v_sub_u32_e32 v17, 0, v16
	v_cndmask_b32_e64 v8, v10, v8, s[4:5]
	v_xor_b32_e32 v18, v14, v17
	v_cndmask_b32_e64 v7, v7, v8, s[6:7]
	v_alignbit_b32 v8, v9, v7, v13
	v_ffbh_u32_e32 v10, v18
	v_cndmask_b32_e64 v8, v8, v9, s[8:9]
	v_add_u32_e32 v10, 1, v10
	v_cmp_ne_u32_e32 vcc, v14, v17
	v_alignbit_b32 v9, v11, v8, 30
	v_cndmask_b32_e32 v10, 33, v10, vcc
	v_alignbit_b32 v7, v8, v7, 30
	v_xor_b32_e32 v9, v9, v17
	v_sub_u32_e32 v11, 32, v10
	v_xor_b32_e32 v7, v7, v17
	v_alignbit_b32 v12, v18, v9, v11
	v_alignbit_b32 v7, v9, v7, v11
	;; [unrolled: 1-line block ×3, first 2 shown]
	v_ffbh_u32_e32 v9, v8
	v_min_u32_e32 v9, 32, v9
	v_lshrrev_b32_e32 v15, 29, v6
	v_sub_u32_e32 v11, 31, v9
	v_alignbit_b32 v7, v8, v7, v11
	v_lshlrev_b32_e32 v8, 31, v15
	v_or_b32_e32 v11, 0x33800000, v8
	v_add_lshl_u32 v9, v9, v10, 23
	v_lshrrev_b32_e32 v7, 9, v7
	v_sub_u32_e32 v9, v11, v9
	v_or_b32_e32 v7, v9, v7
	v_alignbit_b32 v9, v10, v12, 9
	v_or_b32_e32 v8, v9, v8
	v_xor_b32_e32 v8, 1.0, v8
	s_mov_b32 s4, 0x3fc90fda
	v_mul_f32_e32 v9, 0x3fc90fda, v8
	v_fma_f32 v10, v8, s4, -v9
	v_fmac_f32_e32 v10, 0x33a22168, v8
	v_fmac_f32_e32 v10, 0x3fc90fda, v7
	v_lshrrev_b32_e32 v6, 30, v6
	v_add_f32_e32 v7, v9, v10
	v_add_u32_e32 v6, v16, v6
	s_andn2_saveexec_b64 s[4:5], s[18:19]
	s_cbranch_execnz .LBB20_130
	s_branch .LBB20_131
.LBB20_129:
	s_andn2_saveexec_b64 s[4:5], s[18:19]
.LBB20_130:
	s_mov_b32 s6, 0x3f22f983
	v_mul_f32_e64 v6, |v1|, s6
	v_rndne_f32_e32 v8, v6
	s_mov_b32 s6, 0xbfc90fda
	v_cvt_i32_f32_e32 v6, v8
	v_fma_f32 v7, v8, s6, |v1|
	v_fmac_f32_e32 v7, 0xb3a22168, v8
	v_fmac_f32_e32 v7, 0xa7c234c4, v8
.LBB20_131:
	s_or_b64 exec, exec, s[4:5]
	v_div_scale_f32 v8, s[4:5], v3, v3, 1.0
	v_rcp_f32_e32 v9, v8
	v_div_scale_f32 v10, vcc, 1.0, v3, 1.0
	v_mov_b32_e32 v15, 0xb29020e8
	v_fma_f32 v11, -v8, v9, 1.0
	v_fmac_f32_e32 v9, v11, v9
	v_mul_f32_e32 v11, v10, v9
	v_fma_f32 v12, -v8, v11, v10
	v_fmac_f32_e32 v11, v12, v9
	v_fma_f32 v8, -v8, v11, v10
	v_div_fmas_f32 v8, v8, v9, v11
	v_div_fixup_f32 v3, v8, v3, 1.0
	v_mul_f32_e32 v8, v3, v3
	v_mov_b32_e32 v9, 0xbe06db67
	v_fmac_f32_e32 v9, 0, v8
	v_mov_b32_e32 v10, 0xbf205f75
	v_fmac_f32_e32 v10, v8, v9
	;; [unrolled: 2-line block ×15, first 2 shown]
	v_mov_b32_e32 v11, 0x389e46bd
	v_mul_f32_e32 v16, v5, v5
	v_mov_b32_e32 v13, 0xbab64f3b
	v_fmac_f32_e32 v11, v8, v9
	v_mov_b32_e32 v14, 0x34f295ce
	v_fmac_f32_e32 v15, v8, v10
	;; [unrolled: 2-line block ×4, first 2 shown]
	v_fmac_f32_e32 v10, 0xb94c1982, v16
	v_mov_b32_e32 v11, 0xbe2aaa9d
	v_fma_f32 v17, v16, v13, v12
	v_mov_b32_e32 v13, 0xbf000004
	v_fma_f32 v10, v16, v10, v11
	v_fma_f32 v17, v16, v17, v13
	v_mul_f32_e32 v10, v16, v10
	v_fma_f32 v16, v16, v17, 1.0
	v_and_b32_e32 v17, 1, v4
	v_lshlrev_b32_e32 v4, 30, v4
	v_fmac_f32_e32 v5, v5, v10
	v_cmp_eq_u32_e32 vcc, 0, v17
	v_and_b32_e32 v4, 0x80000000, v4
	v_xor_b32_e32 v2, v2, v1
	v_cndmask_b32_e32 v5, v16, v5, vcc
	v_xor_b32_e32 v2, v2, v4
	v_xor_b32_e32 v4, v2, v5
	v_mul_f32_e32 v5, v8, v15
	v_div_scale_f32 v15, s[4:5], v14, v14, v5
	v_rcp_f32_e32 v16, v15
	s_movk_i32 s6, 0x1f8
	v_mov_b32_e32 v2, 0x7fc00000
	v_cmp_class_f32_e64 s[4:5], v1, s6
	v_cndmask_b32_e64 v1, v2, v4, s[4:5]
	v_fma_f32 v4, -v15, v16, 1.0
	v_fmac_f32_e32 v16, v4, v16
	v_div_scale_f32 v4, vcc, v5, v14, v5
	v_mul_f32_e32 v17, v4, v16
	v_fma_f32 v18, -v15, v17, v4
	v_fmac_f32_e32 v17, v18, v16
	v_fma_f32 v4, -v15, v17, v4
	v_div_fmas_f32 v4, v4, v16, v17
	v_div_fixup_f32 v4, v4, v14, v5
	v_mov_b32_e32 v5, 0x3ca1a92f
	v_fmac_f32_e32 v5, 0, v8
	v_mov_b32_e32 v14, 0x3ec83ea8
	v_fmac_f32_e32 v14, v8, v5
	;; [unrolled: 2-line block ×17, first 2 shown]
	v_mov_b32_e32 v14, 0x3b873823
	s_mov_b32 s6, 0xf800000
	v_fmac_f32_e32 v14, v8, v15
	v_mul_f32_e32 v15, 0x4f800000, v0
	v_cmp_gt_f32_e32 vcc, s6, v0
	v_cndmask_b32_e32 v0, v0, v15, vcc
	v_sqrt_f32_e32 v15, v0
	s_mov_b32 s8, 0x3f106ebb
	v_mov_b32_e32 v16, 0x38d45b0f
	v_fmac_f32_e32 v16, v8, v14
	v_add_u32_e32 v17, -1, v15
	v_fma_f32 v18, -v17, v15, v0
	v_cmp_ge_f32_e64 s[6:7], 0, v18
	v_add_u32_e32 v18, 1, v15
	v_cndmask_b32_e64 v17, v15, v17, s[6:7]
	v_fma_f32 v15, -v18, v15, v0
	v_cmp_lt_f32_e64 s[6:7], 0, v15
	v_cndmask_b32_e64 v15, v17, v18, s[6:7]
	v_mul_f32_e32 v17, 0x37800000, v15
	v_cndmask_b32_e32 v15, v15, v17, vcc
	v_mov_b32_e32 v17, 0x260
	v_cmp_class_f32_e32 vcc, v0, v17
	v_cndmask_b32_e32 v0, v15, v0, vcc
	v_div_scale_f32 v15, s[6:7], v0, v0, s8
	v_rcp_f32_e32 v17, v15
	v_mov_b32_e32 v14, 0x359d422f
	v_fmac_f32_e32 v14, v8, v16
	v_mov_b32_e32 v16, 0x31a8fe3a
	v_fmac_f32_e32 v16, v8, v14
	v_fma_f32 v8, -v15, v17, 1.0
	v_fmac_f32_e32 v17, v8, v17
	v_div_scale_f32 v8, vcc, s8, v0, s8
	v_mul_f32_e32 v14, v8, v17
	v_fma_f32 v18, -v15, v14, v8
	v_fmac_f32_e32 v14, v18, v17
	v_fma_f32 v8, -v15, v14, v8
	v_div_fmas_f32 v8, v8, v17, v14
	v_mov_b32_e32 v9, 0x3c0881c4
	v_div_fixup_f32 v0, v8, v0, s8
	v_mul_f32_e32 v8, v7, v7
	v_mov_b32_e32 v10, 0xbab64f3b
	v_fmac_f32_e32 v9, 0xb94c1982, v8
	v_fmac_f32_e32 v11, v8, v9
	;; [unrolled: 1-line block ×3, first 2 shown]
	v_mul_f32_e32 v9, v8, v11
	v_fmac_f32_e32 v12, v8, v10
	v_fmac_f32_e32 v7, v7, v9
	;; [unrolled: 1-line block ×3, first 2 shown]
	v_and_b32_e32 v9, 1, v6
	v_mul_f32_e32 v3, v3, v5
	v_fma_f32 v8, v8, v13, 1.0
	v_cmp_eq_u32_e32 vcc, 0, v9
	v_div_scale_f32 v5, s[6:7], v16, v16, v3
	v_cndmask_b32_e64 v7, -v7, v8, vcc
	v_rcp_f32_e32 v8, v5
	v_lshlrev_b32_e32 v6, 30, v6
	v_and_b32_e32 v6, 0x80000000, v6
	v_xor_b32_e32 v6, v6, v7
	v_cndmask_b32_e64 v2, v2, v6, s[4:5]
	v_fma_f32 v6, -v5, v8, 1.0
	v_fmac_f32_e32 v8, v6, v8
	v_div_scale_f32 v6, vcc, v3, v16, v3
	v_mul_f32_e32 v7, v6, v8
	v_fma_f32 v9, -v5, v7, v6
	v_fmac_f32_e32 v7, v9, v8
	v_fma_f32 v5, -v5, v7, v6
	v_div_fmas_f32 v5, v5, v8, v7
	v_div_fixup_f32 v3, v5, v16, v3
	v_add_f32_e32 v4, 1.0, v4
	v_mul_f32_e32 v2, v3, v2
	v_fma_f32 v1, v4, v1, -v2
	v_mul_f32_e32 v0, v0, v1
.LBB20_132:
	s_or_b64 exec, exec, s[16:17]
.LBB20_133:
	s_or_b64 exec, exec, s[14:15]
.LBB20_134:
	s_or_b64 exec, exec, s[12:13]
	s_or_b64 exec, exec, s[10:11]
	s_setpc_b64 s[30:31]
.LBB20_135:
	s_or_saveexec_b64 s[20:21], s[20:21]
	v_mov_b32_e32 v5, s24
	s_xor_b64 exec, exec, s[20:21]
	s_cbranch_execz .LBB20_104
.LBB20_136:
	v_cmp_ne_u16_e32 vcc, 0, v2
	s_andn2_b64 s[18:19], s[18:19], exec
	s_and_b64 s[22:23], vcc, exec
	v_mov_b32_e32 v5, 0
	s_or_b64 s[18:19], s[18:19], s[22:23]
	s_or_b64 exec, exec, s[20:21]
	s_and_saveexec_b64 s[20:21], s[18:19]
	s_cbranch_execnz .LBB20_105
	s_branch .LBB20_106
.Lfunc_end20:
	.size	_ZN2at6native6invokeIZZZNS0_12_GLOBAL__N_119airy_ai_kernel_cudaERNS_18TensorIteratorBaseEENKUlvE_clEvENKUlvE0_clEvEUlfE_i15function_traitsIS7_EEENT1_11result_typeERKT_PrKPcPKT0_PKN3c1010ScalarTypeEi, .Lfunc_end20-_ZN2at6native6invokeIZZZNS0_12_GLOBAL__N_119airy_ai_kernel_cudaERNS_18TensorIteratorBaseEENKUlvE_clEvENKUlvE0_clEvEUlfE_i15function_traitsIS7_EEENT1_11result_typeERKT_PrKPcPKT0_PKN3c1010ScalarTypeEi
                                        ; -- End function
	.section	.AMDGPU.csdata,"",@progbits
; Function info:
; codeLenInByte = 6700
; NumSgprs: 36
; NumVgprs: 22
; NumAgprs: 0
; TotalNumVgprs: 22
; ScratchSize: 0
; MemoryBound: 1
	.section	.text._ZN2at6native32elementwise_kernel_manual_unrollILi128ELi4EZNS0_15gpu_kernel_implIZZZNS0_12_GLOBAL__N_119airy_ai_kernel_cudaERNS_18TensorIteratorBaseEENKUlvE_clEvENKUlvE0_clEvEUlfE_EEvS5_RKT_EUlibE_EEviT1_,"axG",@progbits,_ZN2at6native32elementwise_kernel_manual_unrollILi128ELi4EZNS0_15gpu_kernel_implIZZZNS0_12_GLOBAL__N_119airy_ai_kernel_cudaERNS_18TensorIteratorBaseEENKUlvE_clEvENKUlvE0_clEvEUlfE_EEvS5_RKT_EUlibE_EEviT1_,comdat
	.globl	_ZN2at6native32elementwise_kernel_manual_unrollILi128ELi4EZNS0_15gpu_kernel_implIZZZNS0_12_GLOBAL__N_119airy_ai_kernel_cudaERNS_18TensorIteratorBaseEENKUlvE_clEvENKUlvE0_clEvEUlfE_EEvS5_RKT_EUlibE_EEviT1_ ; -- Begin function _ZN2at6native32elementwise_kernel_manual_unrollILi128ELi4EZNS0_15gpu_kernel_implIZZZNS0_12_GLOBAL__N_119airy_ai_kernel_cudaERNS_18TensorIteratorBaseEENKUlvE_clEvENKUlvE0_clEvEUlfE_EEvS5_RKT_EUlibE_EEviT1_
	.p2align	8
	.type	_ZN2at6native32elementwise_kernel_manual_unrollILi128ELi4EZNS0_15gpu_kernel_implIZZZNS0_12_GLOBAL__N_119airy_ai_kernel_cudaERNS_18TensorIteratorBaseEENKUlvE_clEvENKUlvE0_clEvEUlfE_EEvS5_RKT_EUlibE_EEviT1_,@function
_ZN2at6native32elementwise_kernel_manual_unrollILi128ELi4EZNS0_15gpu_kernel_implIZZZNS0_12_GLOBAL__N_119airy_ai_kernel_cudaERNS_18TensorIteratorBaseEENKUlvE_clEvENKUlvE0_clEvEUlfE_EEvS5_RKT_EUlibE_EEviT1_: ; @_ZN2at6native32elementwise_kernel_manual_unrollILi128ELi4EZNS0_15gpu_kernel_implIZZZNS0_12_GLOBAL__N_119airy_ai_kernel_cudaERNS_18TensorIteratorBaseEENKUlvE_clEvENKUlvE0_clEvEUlfE_EEvS5_RKT_EUlibE_EEviT1_
; %bb.0:
	v_mov_b32_e32 v1, 0
	global_load_ushort v29, v1, s[4:5] offset:33
	s_load_dwordx4 s[36:39], s[4:5], 0x8
	s_load_dwordx2 s[28:29], s[4:5], 0x18
	s_load_dword s33, s[4:5], 0x0
	s_add_u32 flat_scratch_lo, s6, s9
	s_addc_u32 flat_scratch_hi, s7, 0
	v_lshl_or_b32 v23, s8, 9, v0
	s_add_u32 s0, s0, s9
	v_or_b32_e32 v27, 0x180, v23
	s_addc_u32 s1, s1, 0
	s_mov_b64 s[34:35], 0
	s_waitcnt lgkmcnt(0)
	v_cmp_le_i32_e32 vcc, s33, v27
	s_mov_b64 s[42:43], 0
	s_mov_b32 s32, 0
	s_waitcnt vmcnt(0)
	v_lshrrev_b16_e32 v25, 8, v29
	s_and_saveexec_b64 s[4:5], vcc
	s_xor_b64 s[40:41], exec, s[4:5]
	s_cbranch_execz .LBB21_508
; %bb.1:
	v_cmp_gt_i32_e32 vcc, s33, v23
	s_mov_b64 s[4:5], -1
	s_mov_b64 s[48:49], 0
	s_and_saveexec_b64 s[44:45], vcc
	s_cbranch_execz .LBB21_124
; %bb.2:
	v_mov_b32_e32 v0, s38
	v_mov_b32_e32 v1, s39
	;; [unrolled: 1-line block ×5, first 2 shown]
	s_getpc_b64 s[4:5]
	s_add_u32 s4, s4, _ZN2at6native6invokeIZZZNS0_12_GLOBAL__N_119airy_ai_kernel_cudaERNS_18TensorIteratorBaseEENKUlvE_clEvENKUlvE0_clEvEUlfE_i15function_traitsIS7_EEENT1_11result_typeERKT_PrKPcPKT0_PKN3c1010ScalarTypeEi@rel32@lo+4
	s_addc_u32 s5, s5, _ZN2at6native6invokeIZZZNS0_12_GLOBAL__N_119airy_ai_kernel_cudaERNS_18TensorIteratorBaseEENKUlvE_clEvENKUlvE0_clEvEUlfE_i15function_traitsIS7_EEENT1_11result_typeERKT_PrKPcPKT0_PKN3c1010ScalarTypeEi@rel32@hi+12
	s_swappc_b64 s[30:31], s[4:5]
	v_mul_lo_u32 v1, v23, s28
	v_ashrrev_i32_e32 v3, 31, v1
	v_mov_b32_e32 v4, s37
	v_add_co_u32_e32 v2, vcc, s36, v1
	v_mov_b32_e32 v1, 11
	v_addc_co_u32_e32 v3, vcc, v4, v3, vcc
	v_cmp_lt_i16_sdwa s[4:5], v29, v1 src0_sel:BYTE_0 src1_sel:DWORD
	s_and_b64 vcc, exec, s[4:5]
	s_cbranch_vccnz .LBB21_9
; %bb.3:
	v_mov_b32_e32 v1, 25
	v_cmp_gt_i16_sdwa s[4:5], v29, v1 src0_sel:BYTE_0 src1_sel:DWORD
	s_and_b64 vcc, exec, s[4:5]
	s_cbranch_vccz .LBB21_12
; %bb.4:
	v_mov_b32_e32 v1, 28
	v_cmp_gt_i16_sdwa s[4:5], v29, v1 src0_sel:BYTE_0 src1_sel:DWORD
	s_and_b64 vcc, exec, s[4:5]
	s_cbranch_vccz .LBB21_13
	;; [unrolled: 5-line block ×4, first 2 shown]
; %bb.7:
	v_mov_b32_e32 v1, 46
	v_cmp_eq_u16_sdwa s[6:7], v29, v1 src0_sel:BYTE_0 src1_sel:DWORD
	s_mov_b64 s[8:9], 0
	s_mov_b64 s[4:5], -1
	s_and_b64 vcc, exec, s[6:7]
	s_mov_b64 s[6:7], 0
	s_cbranch_vccz .LBB21_16
; %bb.8:
	v_bfe_u32 v1, v0, 16, 1
	s_movk_i32 s4, 0x7fff
	v_add3_u32 v1, v0, v1, s4
	v_lshrrev_b32_e32 v1, 16, v1
	v_mov_b32_e32 v4, 0x7fc0
	v_cmp_o_f32_e32 vcc, v0, v0
	v_cndmask_b32_e32 v1, v4, v1, vcc
	global_store_dword v[2:3], v1, off
	s_mov_b64 s[6:7], -1
	s_mov_b64 s[4:5], 0
	s_branch .LBB21_16
.LBB21_9:
	s_mov_b64 s[4:5], 0
	s_mov_b64 s[6:7], 0
	s_cbranch_execnz .LBB21_84
.LBB21_10:
	s_andn2_b64 vcc, exec, s[6:7]
	s_cbranch_vccnz .LBB21_122
.LBB21_11:
	v_add_u32_e32 v23, 0x80, v23
	s_mov_b64 s[6:7], -1
	s_branch .LBB21_123
.LBB21_12:
	s_mov_b64 s[4:5], 0
	s_mov_b64 s[6:7], 0
	s_cbranch_execnz .LBB21_43
	s_branch .LBB21_83
.LBB21_13:
	s_mov_b64 s[8:9], -1
	s_mov_b64 s[4:5], 0
	s_mov_b64 s[6:7], 0
	s_branch .LBB21_26
.LBB21_14:
	s_mov_b64 s[8:9], -1
	s_mov_b64 s[4:5], 0
	s_mov_b64 s[6:7], 0
	s_branch .LBB21_22
.LBB21_15:
	s_mov_b64 s[8:9], -1
	s_mov_b64 s[4:5], 0
	s_mov_b64 s[6:7], 0
.LBB21_16:
	s_and_b64 vcc, exec, s[8:9]
	s_cbranch_vccz .LBB21_21
; %bb.17:
	v_mov_b32_e32 v1, 44
	v_cmp_eq_u16_sdwa s[8:9], v29, v1 src0_sel:BYTE_0 src1_sel:DWORD
	s_mov_b64 s[4:5], -1
	s_and_b64 vcc, exec, s[8:9]
	s_cbranch_vccz .LBB21_21
; %bb.18:
	v_bfe_u32 v1, v0, 23, 8
	s_movk_i32 s4, 0xff
	v_cmp_ne_u32_e32 vcc, s4, v1
	v_mov_b32_e32 v4, 0xff
	s_and_saveexec_b64 s[6:7], vcc
; %bb.19:
	s_mov_b32 s4, 0x3fffff
	v_and_b32_e32 v5, 0x400000, v0
	v_and_or_b32 v1, v0, s4, v1
	v_cmp_ne_u32_e32 vcc, 0, v5
	v_cmp_ne_u32_e64 s[4:5], 0, v1
	s_and_b64 s[4:5], vcc, s[4:5]
	v_lshrrev_b32_e32 v4, 23, v0
	v_cndmask_b32_e64 v1, 0, 1, s[4:5]
	v_add_u32_e32 v4, v4, v1
; %bb.20:
	s_or_b64 exec, exec, s[6:7]
	s_mov_b64 s[6:7], -1
	s_mov_b64 s[4:5], 0
	global_store_byte v[2:3], v4, off
.LBB21_21:
	s_mov_b64 s[8:9], 0
.LBB21_22:
	s_and_b64 vcc, exec, s[8:9]
	s_cbranch_vccz .LBB21_25
; %bb.23:
	v_mov_b32_e32 v1, 29
	v_cmp_eq_u16_sdwa s[8:9], v29, v1 src0_sel:BYTE_0 src1_sel:DWORD
	s_mov_b64 s[4:5], -1
	s_and_b64 vcc, exec, s[8:9]
	s_cbranch_vccz .LBB21_25
; %bb.24:
	v_trunc_f32_e32 v1, v0
	v_mul_f32_e32 v4, 0x2f800000, v1
	v_floor_f32_e32 v4, v4
	v_fmac_f32_e32 v1, 0xcf800000, v4
	v_cvt_u32_f32_e32 v5, v4
	v_cvt_u32_f32_e32 v4, v1
	s_mov_b64 s[6:7], -1
	s_mov_b64 s[4:5], 0
	s_mov_b64 s[8:9], 0
	global_store_dwordx2 v[2:3], v[4:5], off
	s_branch .LBB21_26
.LBB21_25:
	s_mov_b64 s[8:9], 0
.LBB21_26:
	s_and_b64 vcc, exec, s[8:9]
	s_cbranch_vccz .LBB21_42
; %bb.27:
	v_mov_b32_e32 v1, 27
	v_cmp_lt_i16_sdwa s[8:9], v29, v1 src0_sel:BYTE_0 src1_sel:DWORD
	s_mov_b64 s[6:7], -1
	s_and_b64 vcc, exec, s[8:9]
	s_cbranch_vccnz .LBB21_33
; %bb.28:
	v_cmp_gt_i16_sdwa s[8:9], v29, v1 src0_sel:BYTE_0 src1_sel:DWORD
	v_cvt_u32_f32_e32 v1, v0
	s_and_b64 vcc, exec, s[8:9]
	s_cbranch_vccz .LBB21_30
; %bb.29:
	s_mov_b64 s[6:7], 0
	global_store_dword v[2:3], v1, off
.LBB21_30:
	s_andn2_b64 vcc, exec, s[6:7]
	s_cbranch_vccnz .LBB21_32
; %bb.31:
	global_store_short v[2:3], v1, off
.LBB21_32:
	s_mov_b64 s[6:7], 0
.LBB21_33:
	s_andn2_b64 vcc, exec, s[6:7]
	s_cbranch_vccnz .LBB21_41
; %bb.34:
	v_and_b32_e32 v1, 0x7fffffff, v0
	s_mov_b32 s6, 0x43800000
	v_cmp_gt_u32_e32 vcc, s6, v1
	v_mov_b32_e32 v4, 0x80
	s_and_saveexec_b64 s[6:7], vcc
	s_cbranch_execz .LBB21_40
; %bb.35:
	s_mov_b32 s8, 0x3bffffff
	v_cmp_lt_u32_e32 vcc, s8, v1
	s_mov_b64 s[8:9], 0
                                        ; implicit-def: $vgpr1
	s_and_saveexec_b64 s[10:11], vcc
	s_xor_b64 s[10:11], exec, s[10:11]
	s_cbranch_execz .LBB21_141
; %bb.36:
	v_bfe_u32 v1, v0, 20, 1
	s_mov_b32 s12, 0x487ffff
	v_add3_u32 v1, v0, v1, s12
	s_mov_b64 s[8:9], exec
	v_lshrrev_b32_e32 v1, 20, v1
	s_or_saveexec_b64 s[10:11], s[10:11]
                                        ; implicit-def: $sgpr12
	s_xor_b64 exec, exec, s[10:11]
	s_cbranch_execnz .LBB21_142
.LBB21_37:
	s_or_b64 exec, exec, s[10:11]
	v_mov_b32_e32 v4, s12
	s_and_saveexec_b64 s[10:11], s[8:9]
.LBB21_38:
	v_lshrrev_b32_e32 v4, 24, v0
	s_movk_i32 s8, 0x80
	v_and_or_b32 v4, v4, s8, v1
.LBB21_39:
	s_or_b64 exec, exec, s[10:11]
.LBB21_40:
	s_or_b64 exec, exec, s[6:7]
	global_store_byte v[2:3], v4, off
.LBB21_41:
	s_mov_b64 s[6:7], -1
.LBB21_42:
	s_branch .LBB21_83
.LBB21_43:
	v_mov_b32_e32 v1, 22
	v_cmp_gt_i16_sdwa s[10:11], v29, v1 src0_sel:BYTE_0 src1_sel:DWORD
	s_mov_b64 s[8:9], -1
	s_and_b64 vcc, exec, s[10:11]
	s_cbranch_vccz .LBB21_75
; %bb.44:
	v_mov_b32_e32 v1, 24
	v_cmp_lt_i16_sdwa s[8:9], v29, v1 src0_sel:BYTE_0 src1_sel:DWORD
	s_mov_b64 s[6:7], -1
	s_and_b64 vcc, exec, s[8:9]
	s_cbranch_vccnz .LBB21_64
; %bb.45:
	v_cmp_gt_i16_sdwa s[8:9], v29, v1 src0_sel:BYTE_0 src1_sel:DWORD
	s_and_b64 vcc, exec, s[8:9]
	s_cbranch_vccz .LBB21_53
; %bb.46:
	v_and_b32_e32 v1, 0x7fffffff, v0
	s_mov_b32 s6, 0x47800000
	v_cmp_gt_u32_e32 vcc, s6, v1
	v_mov_b32_e32 v4, 0x80
	s_and_saveexec_b64 s[6:7], vcc
	s_cbranch_execz .LBB21_52
; %bb.47:
	s_mov_b32 s8, 0x37ffffff
	v_cmp_lt_u32_e32 vcc, s8, v1
	s_mov_b64 s[8:9], 0
                                        ; implicit-def: $vgpr1
	s_and_saveexec_b64 s[10:11], vcc
	s_xor_b64 s[10:11], exec, s[10:11]
	s_cbranch_execz .LBB21_144
; %bb.48:
	v_bfe_u32 v1, v0, 21, 1
	s_mov_b32 s12, 0x88fffff
	v_add3_u32 v1, v0, v1, s12
	s_mov_b64 s[8:9], exec
	v_lshrrev_b32_e32 v1, 21, v1
	s_or_saveexec_b64 s[10:11], s[10:11]
                                        ; implicit-def: $sgpr12
	s_xor_b64 exec, exec, s[10:11]
	s_cbranch_execnz .LBB21_145
.LBB21_49:
	s_or_b64 exec, exec, s[10:11]
	v_mov_b32_e32 v4, s12
	s_and_saveexec_b64 s[10:11], s[8:9]
.LBB21_50:
	v_lshrrev_b32_e32 v4, 24, v0
	s_movk_i32 s8, 0x80
	v_and_or_b32 v4, v4, s8, v1
.LBB21_51:
	s_or_b64 exec, exec, s[10:11]
.LBB21_52:
	s_or_b64 exec, exec, s[6:7]
	s_mov_b64 s[6:7], 0
	global_store_byte v[2:3], v4, off
.LBB21_53:
	s_and_b64 vcc, exec, s[6:7]
	s_cbranch_vccz .LBB21_63
; %bb.54:
	v_and_b32_e32 v4, 0x7fffffff, v0
	s_mov_b32 s6, 0x43f00000
	v_cmp_gt_u32_e32 vcc, s6, v4
                                        ; implicit-def: $vgpr1
	s_and_saveexec_b64 s[6:7], vcc
	s_xor_b64 s[6:7], exec, s[6:7]
	s_cbranch_execz .LBB21_60
; %bb.55:
	s_mov_b32 s8, 0x3c7fffff
	v_cmp_lt_u32_e32 vcc, s8, v4
                                        ; implicit-def: $vgpr1
	s_and_saveexec_b64 s[8:9], vcc
	s_xor_b64 s[8:9], exec, s[8:9]
; %bb.56:
	v_bfe_u32 v1, v0, 20, 1
	s_mov_b32 s10, 0x407ffff
	v_add3_u32 v1, v0, v1, s10
	v_lshrrev_b32_e32 v4, 20, v1
	v_and_b32_e32 v1, 0xff00000, v1
	s_mov_b32 s10, 0x7f00000
	v_mov_b32_e32 v5, 0x7e
	v_cmp_ne_u32_e32 vcc, s10, v1
	v_cndmask_b32_e32 v1, v5, v4, vcc
; %bb.57:
	s_andn2_saveexec_b64 s[8:9], s[8:9]
; %bb.58:
	s_mov_b32 s10, 0x46800000
	v_add_f32_e64 v1, |v0|, s10
; %bb.59:
	s_or_b64 exec, exec, s[8:9]
                                        ; implicit-def: $vgpr4
.LBB21_60:
	s_andn2_saveexec_b64 s[6:7], s[6:7]
; %bb.61:
	s_mov_b32 s8, 0x7f800000
	v_mov_b32_e32 v1, 0x7e
	v_mov_b32_e32 v5, 0x7f
	v_cmp_lt_u32_e32 vcc, s8, v4
	v_cndmask_b32_e32 v1, v1, v5, vcc
; %bb.62:
	s_or_b64 exec, exec, s[6:7]
	v_lshrrev_b32_e32 v4, 24, v0
	s_movk_i32 s6, 0x80
	v_and_or_b32 v1, v4, s6, v1
	global_store_byte v[2:3], v1, off
.LBB21_63:
	s_mov_b64 s[6:7], 0
.LBB21_64:
	s_andn2_b64 vcc, exec, s[6:7]
	s_cbranch_vccnz .LBB21_74
; %bb.65:
	v_and_b32_e32 v4, 0x7fffffff, v0
	s_mov_b32 s6, 0x47800000
	v_cmp_gt_u32_e32 vcc, s6, v4
                                        ; implicit-def: $vgpr1
	s_and_saveexec_b64 s[6:7], vcc
	s_xor_b64 s[6:7], exec, s[6:7]
	s_cbranch_execz .LBB21_71
; %bb.66:
	s_mov_b32 s8, 0x387fffff
	v_cmp_lt_u32_e32 vcc, s8, v4
                                        ; implicit-def: $vgpr1
	s_and_saveexec_b64 s[8:9], vcc
	s_xor_b64 s[8:9], exec, s[8:9]
; %bb.67:
	v_bfe_u32 v1, v0, 21, 1
	s_mov_b32 s10, 0x80fffff
	v_add3_u32 v1, v0, v1, s10
	v_lshrrev_b32_e32 v1, 21, v1
; %bb.68:
	s_andn2_saveexec_b64 s[8:9], s[8:9]
; %bb.69:
	s_mov_b32 s10, 0x43000000
	v_add_f32_e64 v1, |v0|, s10
; %bb.70:
	s_or_b64 exec, exec, s[8:9]
                                        ; implicit-def: $vgpr4
.LBB21_71:
	s_andn2_saveexec_b64 s[6:7], s[6:7]
; %bb.72:
	s_mov_b32 s8, 0x7f800000
	v_mov_b32_e32 v1, 0x7c
	v_mov_b32_e32 v5, 0x7f
	v_cmp_lt_u32_e32 vcc, s8, v4
	v_cndmask_b32_e32 v1, v1, v5, vcc
; %bb.73:
	s_or_b64 exec, exec, s[6:7]
	v_lshrrev_b32_e32 v4, 24, v0
	s_movk_i32 s6, 0x80
	v_and_or_b32 v1, v4, s6, v1
	global_store_byte v[2:3], v1, off
.LBB21_74:
	s_mov_b64 s[8:9], 0
	s_mov_b64 s[6:7], -1
.LBB21_75:
	s_andn2_b64 vcc, exec, s[8:9]
	s_cbranch_vccnz .LBB21_83
; %bb.76:
	v_mov_b32_e32 v1, 14
	v_cmp_gt_i16_sdwa s[10:11], v29, v1 src0_sel:BYTE_0 src1_sel:DWORD
	s_mov_b64 s[8:9], -1
	s_and_b64 vcc, exec, s[10:11]
	s_cbranch_vccz .LBB21_80
; %bb.77:
	v_mov_b32_e32 v1, 15
	v_cmp_eq_u16_sdwa s[8:9], v29, v1 src0_sel:BYTE_0 src1_sel:DWORD
	s_mov_b64 s[4:5], -1
	s_and_b64 vcc, exec, s[8:9]
	s_cbranch_vccz .LBB21_79
; %bb.78:
	v_bfe_u32 v1, v0, 16, 1
	s_movk_i32 s4, 0x7fff
	v_add3_u32 v1, v0, v1, s4
	v_lshrrev_b32_e32 v1, 16, v1
	v_mov_b32_e32 v4, 0x7fc0
	v_cmp_o_f32_e32 vcc, v0, v0
	v_cndmask_b32_e32 v1, v4, v1, vcc
	global_store_short v[2:3], v1, off
	s_mov_b64 s[6:7], -1
	s_mov_b64 s[4:5], 0
.LBB21_79:
	s_mov_b64 s[8:9], 0
.LBB21_80:
	s_and_b64 vcc, exec, s[8:9]
	s_cbranch_vccz .LBB21_83
; %bb.81:
	v_mov_b32_e32 v1, 11
	v_cmp_eq_u16_sdwa s[8:9], v29, v1 src0_sel:BYTE_0 src1_sel:DWORD
	s_mov_b64 s[4:5], -1
	s_and_b64 vcc, exec, s[8:9]
	s_cbranch_vccz .LBB21_83
; %bb.82:
	v_cmp_neq_f32_e32 vcc, 0, v0
	v_cndmask_b32_e64 v1, 0, 1, vcc
	s_mov_b64 s[6:7], -1
	s_mov_b64 s[4:5], 0
	global_store_byte v[2:3], v1, off
.LBB21_83:
	s_branch .LBB21_10
.LBB21_84:
	v_mov_b32_e32 v1, 5
	v_cmp_lt_i16_sdwa s[8:9], v29, v1 src0_sel:BYTE_0 src1_sel:DWORD
	s_mov_b64 s[6:7], -1
	s_and_b64 vcc, exec, s[8:9]
	s_cbranch_vccnz .LBB21_105
; %bb.85:
	v_mov_b32_e32 v1, 8
	v_cmp_lt_i16_sdwa s[8:9], v29, v1 src0_sel:BYTE_0 src1_sel:DWORD
	s_and_b64 vcc, exec, s[8:9]
	s_cbranch_vccnz .LBB21_95
; %bb.86:
	v_mov_b32_e32 v1, 9
	v_cmp_lt_i16_sdwa s[8:9], v29, v1 src0_sel:BYTE_0 src1_sel:DWORD
	s_and_b64 vcc, exec, s[8:9]
	s_cbranch_vccnz .LBB21_92
; %bb.87:
	v_cmp_gt_i16_sdwa s[8:9], v29, v1 src0_sel:BYTE_0 src1_sel:DWORD
	s_and_b64 vcc, exec, s[8:9]
	s_cbranch_vccz .LBB21_89
; %bb.88:
	v_mov_b32_e32 v6, 0
	v_cvt_f64_f32_e32 v[4:5], v0
	v_mov_b32_e32 v7, v6
	global_store_dwordx4 v[2:3], v[4:7], off
	s_mov_b64 s[6:7], 0
.LBB21_89:
	s_andn2_b64 vcc, exec, s[6:7]
	s_cbranch_vccnz .LBB21_91
; %bb.90:
	v_mov_b32_e32 v1, 0
	global_store_dwordx2 v[2:3], v[0:1], off
.LBB21_91:
	s_mov_b64 s[6:7], 0
.LBB21_92:
	s_andn2_b64 vcc, exec, s[6:7]
	s_cbranch_vccnz .LBB21_94
; %bb.93:
	v_cvt_f16_f32_e32 v1, v0
	global_store_dword v[2:3], v1, off
.LBB21_94:
	s_mov_b64 s[6:7], 0
.LBB21_95:
	s_andn2_b64 vcc, exec, s[6:7]
	s_cbranch_vccnz .LBB21_104
; %bb.96:
	v_mov_b32_e32 v1, 6
	v_cmp_lt_i16_sdwa s[8:9], v29, v1 src0_sel:BYTE_0 src1_sel:DWORD
	s_mov_b64 s[6:7], -1
	s_and_b64 vcc, exec, s[8:9]
	s_cbranch_vccnz .LBB21_102
; %bb.97:
	v_cmp_gt_i16_sdwa s[8:9], v29, v1 src0_sel:BYTE_0 src1_sel:DWORD
	s_and_b64 vcc, exec, s[8:9]
	s_cbranch_vccz .LBB21_99
; %bb.98:
	v_cvt_f64_f32_e32 v[4:5], v0
	global_store_dwordx2 v[2:3], v[4:5], off
	s_mov_b64 s[6:7], 0
.LBB21_99:
	s_andn2_b64 vcc, exec, s[6:7]
	s_cbranch_vccnz .LBB21_101
; %bb.100:
	global_store_dword v[2:3], v0, off
.LBB21_101:
	s_mov_b64 s[6:7], 0
.LBB21_102:
	s_andn2_b64 vcc, exec, s[6:7]
	s_cbranch_vccnz .LBB21_104
; %bb.103:
	v_cvt_f16_f32_e32 v1, v0
	global_store_short v[2:3], v1, off
.LBB21_104:
	s_mov_b64 s[6:7], 0
.LBB21_105:
	s_andn2_b64 vcc, exec, s[6:7]
	s_cbranch_vccnz .LBB21_121
; %bb.106:
	v_mov_b32_e32 v1, 2
	v_cmp_lt_i16_sdwa s[8:9], v29, v1 src0_sel:BYTE_0 src1_sel:DWORD
	s_mov_b64 s[6:7], -1
	s_and_b64 vcc, exec, s[8:9]
	s_cbranch_vccnz .LBB21_116
; %bb.107:
	v_mov_b32_e32 v1, 3
	v_cmp_lt_i16_sdwa s[8:9], v29, v1 src0_sel:BYTE_0 src1_sel:DWORD
	s_and_b64 vcc, exec, s[8:9]
	s_cbranch_vccnz .LBB21_113
; %bb.108:
	v_cmp_gt_i16_sdwa s[8:9], v29, v1 src0_sel:BYTE_0 src1_sel:DWORD
	s_and_b64 vcc, exec, s[8:9]
	s_cbranch_vccz .LBB21_110
; %bb.109:
	v_trunc_f32_e32 v1, v0
	s_mov_b32 s6, 0x2f800000
	v_mul_f32_e64 v4, |v1|, s6
	v_floor_f32_e32 v4, v4
	s_mov_b32 s6, 0xcf800000
	v_cvt_u32_f32_e32 v5, v4
	v_fma_f32 v4, v4, s6, |v1|
	v_cvt_u32_f32_e32 v4, v4
	v_ashrrev_i32_e32 v1, 31, v1
	v_xor_b32_e32 v5, v5, v1
	s_mov_b64 s[6:7], 0
	v_xor_b32_e32 v4, v4, v1
	v_sub_co_u32_e32 v4, vcc, v4, v1
	v_subb_co_u32_e32 v5, vcc, v5, v1, vcc
	global_store_dwordx2 v[2:3], v[4:5], off
.LBB21_110:
	s_andn2_b64 vcc, exec, s[6:7]
	s_cbranch_vccnz .LBB21_112
; %bb.111:
	v_cvt_i32_f32_e32 v1, v0
	global_store_dword v[2:3], v1, off
.LBB21_112:
	s_mov_b64 s[6:7], 0
.LBB21_113:
	s_andn2_b64 vcc, exec, s[6:7]
	s_cbranch_vccnz .LBB21_115
; %bb.114:
	v_cvt_i32_f32_e32 v1, v0
	global_store_short v[2:3], v1, off
.LBB21_115:
	s_mov_b64 s[6:7], 0
.LBB21_116:
	s_andn2_b64 vcc, exec, s[6:7]
	s_cbranch_vccnz .LBB21_121
; %bb.117:
	v_mov_b32_e32 v1, 0
	v_cmp_gt_i16_sdwa s[8:9], v29, v1 src0_sel:BYTE_0 src1_sel:DWORD
	s_mov_b64 s[6:7], -1
	s_and_b64 vcc, exec, s[8:9]
	s_cbranch_vccz .LBB21_119
; %bb.118:
	v_cvt_i32_f32_e32 v1, v0
	s_mov_b64 s[6:7], 0
	global_store_byte v[2:3], v1, off
.LBB21_119:
	s_andn2_b64 vcc, exec, s[6:7]
	s_cbranch_vccnz .LBB21_121
; %bb.120:
	v_trunc_f32_e32 v0, v0
	s_mov_b32 s6, 0x2f800000
	v_mul_f32_e64 v1, |v0|, s6
	v_floor_f32_e32 v1, v1
	s_mov_b32 s6, 0xcf800000
	v_fma_f32 v1, v1, s6, |v0|
	v_cvt_u32_f32_e32 v1, v1
	v_ashrrev_i32_e32 v0, 31, v0
	v_xor_b32_e32 v1, v1, v0
	v_sub_u32_e32 v0, v1, v0
	global_store_byte v[2:3], v0, off
.LBB21_121:
	s_branch .LBB21_11
.LBB21_122:
	s_mov_b64 s[6:7], 0
                                        ; implicit-def: $vgpr23
.LBB21_123:
	s_and_b64 s[42:43], s[4:5], exec
	s_orn2_b64 s[4:5], s[6:7], exec
.LBB21_124:
	s_or_b64 exec, exec, s[44:45]
	s_mov_b64 s[6:7], 0
                                        ; implicit-def: $vgpr4
                                        ; implicit-def: $vgpr2_vgpr3
                                        ; implicit-def: $vgpr0
	s_and_saveexec_b64 s[44:45], s[4:5]
	s_cbranch_execz .LBB21_133
; %bb.125:
	v_cmp_gt_i32_e32 vcc, s33, v23
	s_mov_b64 s[8:9], -1
	s_mov_b64 s[46:47], s[42:43]
	s_and_saveexec_b64 s[48:49], vcc
	s_cbranch_execz .LBB21_256
; %bb.126:
	v_mov_b32_e32 v0, s38
	v_mov_b32_e32 v1, s39
	;; [unrolled: 1-line block ×5, first 2 shown]
	s_getpc_b64 s[4:5]
	s_add_u32 s4, s4, _ZN2at6native6invokeIZZZNS0_12_GLOBAL__N_119airy_ai_kernel_cudaERNS_18TensorIteratorBaseEENKUlvE_clEvENKUlvE0_clEvEUlfE_i15function_traitsIS7_EEENT1_11result_typeERKT_PrKPcPKT0_PKN3c1010ScalarTypeEi@rel32@lo+4
	s_addc_u32 s5, s5, _ZN2at6native6invokeIZZZNS0_12_GLOBAL__N_119airy_ai_kernel_cudaERNS_18TensorIteratorBaseEENKUlvE_clEvENKUlvE0_clEvEUlfE_i15function_traitsIS7_EEENT1_11result_typeERKT_PrKPcPKT0_PKN3c1010ScalarTypeEi@rel32@hi+12
	s_swappc_b64 s[30:31], s[4:5]
	v_mul_lo_u32 v1, v23, s28
	v_ashrrev_i32_e32 v3, 31, v1
	v_mov_b32_e32 v4, s37
	v_add_co_u32_e32 v2, vcc, s36, v1
	v_mov_b32_e32 v1, 11
	v_addc_co_u32_e32 v3, vcc, v4, v3, vcc
	v_cmp_lt_i16_sdwa s[4:5], v29, v1 src0_sel:BYTE_0 src1_sel:DWORD
	s_and_b64 vcc, exec, s[4:5]
	s_cbranch_vccnz .LBB21_136
; %bb.127:
	v_mov_b32_e32 v1, 25
	v_cmp_gt_i16_sdwa s[4:5], v29, v1 src0_sel:BYTE_0 src1_sel:DWORD
	s_and_b64 vcc, exec, s[4:5]
	s_cbranch_vccz .LBB21_139
; %bb.128:
	v_mov_b32_e32 v1, 28
	v_cmp_gt_i16_sdwa s[4:5], v29, v1 src0_sel:BYTE_0 src1_sel:DWORD
	s_and_b64 vcc, exec, s[4:5]
	s_cbranch_vccz .LBB21_140
	;; [unrolled: 5-line block ×4, first 2 shown]
; %bb.131:
	v_mov_b32_e32 v1, 46
	v_cmp_eq_u16_sdwa s[6:7], v29, v1 src0_sel:BYTE_0 src1_sel:DWORD
	s_mov_b64 s[8:9], 0
	s_mov_b64 s[4:5], -1
	s_and_b64 vcc, exec, s[6:7]
	s_mov_b64 s[6:7], 0
	s_cbranch_vccz .LBB21_147
; %bb.132:
	v_bfe_u32 v1, v0, 16, 1
	s_movk_i32 s4, 0x7fff
	v_add3_u32 v1, v0, v1, s4
	v_lshrrev_b32_e32 v1, 16, v1
	v_mov_b32_e32 v4, 0x7fc0
	v_cmp_o_f32_e32 vcc, v0, v0
	v_cndmask_b32_e32 v1, v4, v1, vcc
	global_store_dword v[2:3], v1, off
	s_mov_b64 s[6:7], -1
	s_mov_b64 s[4:5], 0
	s_branch .LBB21_147
.LBB21_133:
	s_or_b64 exec, exec, s[44:45]
	s_mov_b64 s[4:5], 0
	s_and_saveexec_b64 s[8:9], s[42:43]
	s_cbranch_execnz .LBB21_468
.LBB21_134:
	s_or_b64 exec, exec, s[8:9]
	s_and_saveexec_b64 s[8:9], s[48:49]
	s_xor_b64 s[8:9], exec, s[8:9]
	s_cbranch_execz .LBB21_469
.LBB21_135:
	v_cmp_neq_f32_e32 vcc, 0, v0
	v_cndmask_b32_e64 v1, 0, 1, vcc
	global_store_byte v[2:3], v1, off
	s_or_b64 exec, exec, s[8:9]
	s_and_saveexec_b64 s[8:9], s[6:7]
	s_xor_b64 s[6:7], exec, s[8:9]
	s_cbranch_execz .LBB21_507
	s_branch .LBB21_470
.LBB21_136:
	s_mov_b64 s[6:7], 0
	s_mov_b64 s[4:5], s[42:43]
	s_cbranch_execnz .LBB21_216
.LBB21_137:
	s_andn2_b64 vcc, exec, s[6:7]
	s_cbranch_vccnz .LBB21_254
.LBB21_138:
	v_add_u32_e32 v23, 0x80, v23
	s_mov_b64 s[6:7], -1
	s_branch .LBB21_255
.LBB21_139:
	s_mov_b64 s[8:9], -1
	s_mov_b64 s[6:7], 0
	s_mov_b64 s[4:5], s[42:43]
	s_branch .LBB21_174
.LBB21_140:
	s_mov_b64 s[8:9], -1
	s_mov_b64 s[6:7], 0
	s_mov_b64 s[4:5], s[42:43]
	s_branch .LBB21_157
.LBB21_141:
	s_or_saveexec_b64 s[10:11], s[10:11]
                                        ; implicit-def: $sgpr12
	s_xor_b64 exec, exec, s[10:11]
	s_cbranch_execz .LBB21_37
.LBB21_142:
	s_mov_b32 s12, 0x46000000
	v_add_f32_e64 v1, |v0|, s12
	v_and_b32_e32 v1, 0xff, v1
	v_cmp_ne_u32_e32 vcc, 0, v1
	s_andn2_b64 s[8:9], s[8:9], exec
	s_and_b64 s[14:15], vcc, exec
	s_mov_b32 s12, 0
	s_or_b64 s[8:9], s[8:9], s[14:15]
	s_or_b64 exec, exec, s[10:11]
	v_mov_b32_e32 v4, s12
	s_and_saveexec_b64 s[10:11], s[8:9]
	s_cbranch_execnz .LBB21_38
	s_branch .LBB21_39
.LBB21_143:
	s_mov_b64 s[8:9], -1
	s_mov_b64 s[6:7], 0
	s_mov_b64 s[4:5], s[42:43]
	s_branch .LBB21_153
.LBB21_144:
	s_or_saveexec_b64 s[10:11], s[10:11]
                                        ; implicit-def: $sgpr12
	s_xor_b64 exec, exec, s[10:11]
	s_cbranch_execz .LBB21_49
.LBB21_145:
	s_mov_b32 s12, 0x42800000
	v_add_f32_e64 v1, |v0|, s12
	v_and_b32_e32 v1, 0xff, v1
	v_cmp_ne_u32_e32 vcc, 0, v1
	s_andn2_b64 s[8:9], s[8:9], exec
	s_and_b64 s[14:15], vcc, exec
	s_mov_b32 s12, 0
	s_or_b64 s[8:9], s[8:9], s[14:15]
	s_or_b64 exec, exec, s[10:11]
	v_mov_b32_e32 v4, s12
	s_and_saveexec_b64 s[10:11], s[8:9]
	s_cbranch_execnz .LBB21_50
	s_branch .LBB21_51
.LBB21_146:
	s_mov_b64 s[8:9], -1
	s_mov_b64 s[6:7], 0
	s_mov_b64 s[4:5], s[42:43]
.LBB21_147:
	s_and_b64 vcc, exec, s[8:9]
	s_cbranch_vccz .LBB21_152
; %bb.148:
	v_mov_b32_e32 v1, 44
	v_cmp_eq_u16_sdwa s[8:9], v29, v1 src0_sel:BYTE_0 src1_sel:DWORD
	s_mov_b64 s[4:5], -1
	s_and_b64 vcc, exec, s[8:9]
	s_cbranch_vccz .LBB21_152
; %bb.149:
	v_bfe_u32 v1, v0, 23, 8
	s_movk_i32 s4, 0xff
	v_cmp_ne_u32_e32 vcc, s4, v1
	v_mov_b32_e32 v4, 0xff
	s_and_saveexec_b64 s[6:7], vcc
; %bb.150:
	s_mov_b32 s4, 0x3fffff
	v_and_b32_e32 v5, 0x400000, v0
	v_and_or_b32 v1, v0, s4, v1
	v_cmp_ne_u32_e32 vcc, 0, v5
	v_cmp_ne_u32_e64 s[4:5], 0, v1
	s_and_b64 s[4:5], vcc, s[4:5]
	v_lshrrev_b32_e32 v4, 23, v0
	v_cndmask_b32_e64 v1, 0, 1, s[4:5]
	v_add_u32_e32 v4, v4, v1
; %bb.151:
	s_or_b64 exec, exec, s[6:7]
	s_mov_b64 s[6:7], -1
	s_mov_b64 s[4:5], 0
	global_store_byte v[2:3], v4, off
.LBB21_152:
	s_mov_b64 s[8:9], 0
.LBB21_153:
	s_and_b64 vcc, exec, s[8:9]
	s_cbranch_vccz .LBB21_156
; %bb.154:
	v_mov_b32_e32 v1, 29
	v_cmp_eq_u16_sdwa s[8:9], v29, v1 src0_sel:BYTE_0 src1_sel:DWORD
	s_mov_b64 s[4:5], -1
	s_and_b64 vcc, exec, s[8:9]
	s_cbranch_vccz .LBB21_156
; %bb.155:
	v_trunc_f32_e32 v1, v0
	v_mul_f32_e32 v4, 0x2f800000, v1
	v_floor_f32_e32 v4, v4
	v_fmac_f32_e32 v1, 0xcf800000, v4
	v_cvt_u32_f32_e32 v5, v4
	v_cvt_u32_f32_e32 v4, v1
	s_mov_b64 s[6:7], -1
	s_mov_b64 s[4:5], 0
	s_mov_b64 s[8:9], 0
	global_store_dwordx2 v[2:3], v[4:5], off
	s_branch .LBB21_157
.LBB21_156:
	s_mov_b64 s[8:9], 0
.LBB21_157:
	s_and_b64 vcc, exec, s[8:9]
	s_cbranch_vccz .LBB21_173
; %bb.158:
	v_mov_b32_e32 v1, 27
	v_cmp_lt_i16_sdwa s[8:9], v29, v1 src0_sel:BYTE_0 src1_sel:DWORD
	s_mov_b64 s[6:7], -1
	s_and_b64 vcc, exec, s[8:9]
	s_cbranch_vccnz .LBB21_164
; %bb.159:
	v_cmp_gt_i16_sdwa s[8:9], v29, v1 src0_sel:BYTE_0 src1_sel:DWORD
	v_cvt_u32_f32_e32 v1, v0
	s_and_b64 vcc, exec, s[8:9]
	s_cbranch_vccz .LBB21_161
; %bb.160:
	s_mov_b64 s[6:7], 0
	global_store_dword v[2:3], v1, off
.LBB21_161:
	s_andn2_b64 vcc, exec, s[6:7]
	s_cbranch_vccnz .LBB21_163
; %bb.162:
	global_store_short v[2:3], v1, off
.LBB21_163:
	s_mov_b64 s[6:7], 0
.LBB21_164:
	s_andn2_b64 vcc, exec, s[6:7]
	s_cbranch_vccnz .LBB21_172
; %bb.165:
	v_and_b32_e32 v1, 0x7fffffff, v0
	s_mov_b32 s6, 0x43800000
	v_cmp_gt_u32_e32 vcc, s6, v1
	v_mov_b32_e32 v4, 0x80
	s_and_saveexec_b64 s[6:7], vcc
	s_cbranch_execz .LBB21_171
; %bb.166:
	s_mov_b32 s8, 0x3bffffff
	v_cmp_lt_u32_e32 vcc, s8, v1
	s_mov_b64 s[8:9], 0
                                        ; implicit-def: $vgpr1
	s_and_saveexec_b64 s[10:11], vcc
	s_xor_b64 s[10:11], exec, s[10:11]
	s_cbranch_execz .LBB21_268
; %bb.167:
	v_bfe_u32 v1, v0, 20, 1
	s_mov_b32 s12, 0x487ffff
	v_add3_u32 v1, v0, v1, s12
	s_mov_b64 s[8:9], exec
	v_lshrrev_b32_e32 v1, 20, v1
	s_or_saveexec_b64 s[10:11], s[10:11]
                                        ; implicit-def: $sgpr12
	s_xor_b64 exec, exec, s[10:11]
	s_cbranch_execnz .LBB21_269
.LBB21_168:
	s_or_b64 exec, exec, s[10:11]
	v_mov_b32_e32 v4, s12
	s_and_saveexec_b64 s[10:11], s[8:9]
.LBB21_169:
	v_lshrrev_b32_e32 v4, 24, v0
	s_movk_i32 s8, 0x80
	v_and_or_b32 v4, v4, s8, v1
.LBB21_170:
	s_or_b64 exec, exec, s[10:11]
.LBB21_171:
	s_or_b64 exec, exec, s[6:7]
	global_store_byte v[2:3], v4, off
.LBB21_172:
	s_mov_b64 s[6:7], -1
.LBB21_173:
	s_mov_b64 s[8:9], 0
.LBB21_174:
	s_and_b64 vcc, exec, s[8:9]
	s_cbranch_vccz .LBB21_215
; %bb.175:
	v_mov_b32_e32 v1, 22
	v_cmp_gt_i16_sdwa s[10:11], v29, v1 src0_sel:BYTE_0 src1_sel:DWORD
	s_mov_b64 s[8:9], -1
	s_and_b64 vcc, exec, s[10:11]
	s_cbranch_vccz .LBB21_207
; %bb.176:
	v_mov_b32_e32 v1, 24
	v_cmp_lt_i16_sdwa s[8:9], v29, v1 src0_sel:BYTE_0 src1_sel:DWORD
	s_mov_b64 s[6:7], -1
	s_and_b64 vcc, exec, s[8:9]
	s_cbranch_vccnz .LBB21_196
; %bb.177:
	v_cmp_gt_i16_sdwa s[8:9], v29, v1 src0_sel:BYTE_0 src1_sel:DWORD
	s_and_b64 vcc, exec, s[8:9]
	s_cbranch_vccz .LBB21_185
; %bb.178:
	v_and_b32_e32 v1, 0x7fffffff, v0
	s_mov_b32 s6, 0x47800000
	v_cmp_gt_u32_e32 vcc, s6, v1
	v_mov_b32_e32 v4, 0x80
	s_and_saveexec_b64 s[6:7], vcc
	s_cbranch_execz .LBB21_184
; %bb.179:
	s_mov_b32 s8, 0x37ffffff
	v_cmp_lt_u32_e32 vcc, s8, v1
	s_mov_b64 s[8:9], 0
                                        ; implicit-def: $vgpr1
	s_and_saveexec_b64 s[10:11], vcc
	s_xor_b64 s[10:11], exec, s[10:11]
	s_cbranch_execz .LBB21_271
; %bb.180:
	v_bfe_u32 v1, v0, 21, 1
	s_mov_b32 s12, 0x88fffff
	v_add3_u32 v1, v0, v1, s12
	s_mov_b64 s[8:9], exec
	v_lshrrev_b32_e32 v1, 21, v1
	s_or_saveexec_b64 s[10:11], s[10:11]
                                        ; implicit-def: $sgpr12
	s_xor_b64 exec, exec, s[10:11]
	s_cbranch_execnz .LBB21_272
.LBB21_181:
	s_or_b64 exec, exec, s[10:11]
	v_mov_b32_e32 v4, s12
	s_and_saveexec_b64 s[10:11], s[8:9]
.LBB21_182:
	v_lshrrev_b32_e32 v4, 24, v0
	s_movk_i32 s8, 0x80
	v_and_or_b32 v4, v4, s8, v1
.LBB21_183:
	s_or_b64 exec, exec, s[10:11]
.LBB21_184:
	s_or_b64 exec, exec, s[6:7]
	s_mov_b64 s[6:7], 0
	global_store_byte v[2:3], v4, off
.LBB21_185:
	s_and_b64 vcc, exec, s[6:7]
	s_cbranch_vccz .LBB21_195
; %bb.186:
	v_and_b32_e32 v4, 0x7fffffff, v0
	s_mov_b32 s6, 0x43f00000
	v_cmp_gt_u32_e32 vcc, s6, v4
                                        ; implicit-def: $vgpr1
	s_and_saveexec_b64 s[6:7], vcc
	s_xor_b64 s[6:7], exec, s[6:7]
	s_cbranch_execz .LBB21_192
; %bb.187:
	s_mov_b32 s8, 0x3c7fffff
	v_cmp_lt_u32_e32 vcc, s8, v4
                                        ; implicit-def: $vgpr1
	s_and_saveexec_b64 s[8:9], vcc
	s_xor_b64 s[8:9], exec, s[8:9]
; %bb.188:
	v_bfe_u32 v1, v0, 20, 1
	s_mov_b32 s10, 0x407ffff
	v_add3_u32 v1, v0, v1, s10
	v_lshrrev_b32_e32 v4, 20, v1
	v_and_b32_e32 v1, 0xff00000, v1
	s_mov_b32 s10, 0x7f00000
	v_mov_b32_e32 v5, 0x7e
	v_cmp_ne_u32_e32 vcc, s10, v1
	v_cndmask_b32_e32 v1, v5, v4, vcc
; %bb.189:
	s_andn2_saveexec_b64 s[8:9], s[8:9]
; %bb.190:
	s_mov_b32 s10, 0x46800000
	v_add_f32_e64 v1, |v0|, s10
; %bb.191:
	s_or_b64 exec, exec, s[8:9]
                                        ; implicit-def: $vgpr4
.LBB21_192:
	s_andn2_saveexec_b64 s[6:7], s[6:7]
; %bb.193:
	s_mov_b32 s8, 0x7f800000
	v_mov_b32_e32 v1, 0x7e
	v_mov_b32_e32 v5, 0x7f
	v_cmp_lt_u32_e32 vcc, s8, v4
	v_cndmask_b32_e32 v1, v1, v5, vcc
; %bb.194:
	s_or_b64 exec, exec, s[6:7]
	v_lshrrev_b32_e32 v4, 24, v0
	s_movk_i32 s6, 0x80
	v_and_or_b32 v1, v4, s6, v1
	global_store_byte v[2:3], v1, off
.LBB21_195:
	s_mov_b64 s[6:7], 0
.LBB21_196:
	s_andn2_b64 vcc, exec, s[6:7]
	s_cbranch_vccnz .LBB21_206
; %bb.197:
	v_and_b32_e32 v4, 0x7fffffff, v0
	s_mov_b32 s6, 0x47800000
	v_cmp_gt_u32_e32 vcc, s6, v4
                                        ; implicit-def: $vgpr1
	s_and_saveexec_b64 s[6:7], vcc
	s_xor_b64 s[6:7], exec, s[6:7]
	s_cbranch_execz .LBB21_203
; %bb.198:
	s_mov_b32 s8, 0x387fffff
	v_cmp_lt_u32_e32 vcc, s8, v4
                                        ; implicit-def: $vgpr1
	s_and_saveexec_b64 s[8:9], vcc
	s_xor_b64 s[8:9], exec, s[8:9]
; %bb.199:
	v_bfe_u32 v1, v0, 21, 1
	s_mov_b32 s10, 0x80fffff
	v_add3_u32 v1, v0, v1, s10
	v_lshrrev_b32_e32 v1, 21, v1
; %bb.200:
	s_andn2_saveexec_b64 s[8:9], s[8:9]
; %bb.201:
	s_mov_b32 s10, 0x43000000
	v_add_f32_e64 v1, |v0|, s10
; %bb.202:
	s_or_b64 exec, exec, s[8:9]
                                        ; implicit-def: $vgpr4
.LBB21_203:
	s_andn2_saveexec_b64 s[6:7], s[6:7]
; %bb.204:
	s_mov_b32 s8, 0x7f800000
	v_mov_b32_e32 v1, 0x7c
	v_mov_b32_e32 v5, 0x7f
	v_cmp_lt_u32_e32 vcc, s8, v4
	v_cndmask_b32_e32 v1, v1, v5, vcc
; %bb.205:
	s_or_b64 exec, exec, s[6:7]
	v_lshrrev_b32_e32 v4, 24, v0
	s_movk_i32 s6, 0x80
	v_and_or_b32 v1, v4, s6, v1
	global_store_byte v[2:3], v1, off
.LBB21_206:
	s_mov_b64 s[8:9], 0
	s_mov_b64 s[6:7], -1
.LBB21_207:
	s_andn2_b64 vcc, exec, s[8:9]
	s_cbranch_vccnz .LBB21_215
; %bb.208:
	v_mov_b32_e32 v1, 14
	v_cmp_gt_i16_sdwa s[10:11], v29, v1 src0_sel:BYTE_0 src1_sel:DWORD
	s_mov_b64 s[8:9], -1
	s_and_b64 vcc, exec, s[10:11]
	s_cbranch_vccz .LBB21_212
; %bb.209:
	v_mov_b32_e32 v1, 15
	v_cmp_eq_u16_sdwa s[8:9], v29, v1 src0_sel:BYTE_0 src1_sel:DWORD
	s_mov_b64 s[4:5], -1
	s_and_b64 vcc, exec, s[8:9]
	s_cbranch_vccz .LBB21_211
; %bb.210:
	v_bfe_u32 v1, v0, 16, 1
	s_movk_i32 s4, 0x7fff
	v_add3_u32 v1, v0, v1, s4
	v_lshrrev_b32_e32 v1, 16, v1
	v_mov_b32_e32 v4, 0x7fc0
	v_cmp_o_f32_e32 vcc, v0, v0
	v_cndmask_b32_e32 v1, v4, v1, vcc
	global_store_short v[2:3], v1, off
	s_mov_b64 s[6:7], -1
	s_mov_b64 s[4:5], 0
.LBB21_211:
	s_mov_b64 s[8:9], 0
.LBB21_212:
	s_and_b64 vcc, exec, s[8:9]
	s_cbranch_vccz .LBB21_215
; %bb.213:
	v_mov_b32_e32 v1, 11
	v_cmp_eq_u16_sdwa s[8:9], v29, v1 src0_sel:BYTE_0 src1_sel:DWORD
	s_mov_b64 s[4:5], -1
	s_and_b64 vcc, exec, s[8:9]
	s_cbranch_vccz .LBB21_215
; %bb.214:
	v_cmp_neq_f32_e32 vcc, 0, v0
	v_cndmask_b32_e64 v1, 0, 1, vcc
	s_mov_b64 s[6:7], -1
	s_mov_b64 s[4:5], 0
	global_store_byte v[2:3], v1, off
.LBB21_215:
	s_branch .LBB21_137
.LBB21_216:
	v_mov_b32_e32 v1, 5
	v_cmp_lt_i16_sdwa s[8:9], v29, v1 src0_sel:BYTE_0 src1_sel:DWORD
	s_mov_b64 s[6:7], -1
	s_and_b64 vcc, exec, s[8:9]
	s_cbranch_vccnz .LBB21_237
; %bb.217:
	v_mov_b32_e32 v1, 8
	v_cmp_lt_i16_sdwa s[8:9], v29, v1 src0_sel:BYTE_0 src1_sel:DWORD
	s_and_b64 vcc, exec, s[8:9]
	s_cbranch_vccnz .LBB21_227
; %bb.218:
	v_mov_b32_e32 v1, 9
	v_cmp_lt_i16_sdwa s[8:9], v29, v1 src0_sel:BYTE_0 src1_sel:DWORD
	s_and_b64 vcc, exec, s[8:9]
	s_cbranch_vccnz .LBB21_224
; %bb.219:
	v_cmp_gt_i16_sdwa s[8:9], v29, v1 src0_sel:BYTE_0 src1_sel:DWORD
	s_and_b64 vcc, exec, s[8:9]
	s_cbranch_vccz .LBB21_221
; %bb.220:
	v_mov_b32_e32 v6, 0
	v_cvt_f64_f32_e32 v[4:5], v0
	v_mov_b32_e32 v7, v6
	s_mov_b64 s[6:7], 0
	global_store_dwordx4 v[2:3], v[4:7], off
.LBB21_221:
	s_andn2_b64 vcc, exec, s[6:7]
	s_cbranch_vccnz .LBB21_223
; %bb.222:
	v_mov_b32_e32 v1, 0
	global_store_dwordx2 v[2:3], v[0:1], off
.LBB21_223:
	s_mov_b64 s[6:7], 0
.LBB21_224:
	s_andn2_b64 vcc, exec, s[6:7]
	s_cbranch_vccnz .LBB21_226
; %bb.225:
	v_cvt_f16_f32_e32 v1, v0
	global_store_dword v[2:3], v1, off
.LBB21_226:
	s_mov_b64 s[6:7], 0
.LBB21_227:
	s_andn2_b64 vcc, exec, s[6:7]
	s_cbranch_vccnz .LBB21_236
; %bb.228:
	v_mov_b32_e32 v1, 6
	v_cmp_lt_i16_sdwa s[8:9], v29, v1 src0_sel:BYTE_0 src1_sel:DWORD
	s_mov_b64 s[6:7], -1
	s_and_b64 vcc, exec, s[8:9]
	s_cbranch_vccnz .LBB21_234
; %bb.229:
	v_cmp_gt_i16_sdwa s[8:9], v29, v1 src0_sel:BYTE_0 src1_sel:DWORD
	s_and_b64 vcc, exec, s[8:9]
	s_cbranch_vccz .LBB21_231
; %bb.230:
	v_cvt_f64_f32_e32 v[4:5], v0
	s_mov_b64 s[6:7], 0
	global_store_dwordx2 v[2:3], v[4:5], off
.LBB21_231:
	s_andn2_b64 vcc, exec, s[6:7]
	s_cbranch_vccnz .LBB21_233
; %bb.232:
	global_store_dword v[2:3], v0, off
.LBB21_233:
	s_mov_b64 s[6:7], 0
.LBB21_234:
	s_andn2_b64 vcc, exec, s[6:7]
	s_cbranch_vccnz .LBB21_236
; %bb.235:
	v_cvt_f16_f32_e32 v1, v0
	global_store_short v[2:3], v1, off
.LBB21_236:
	s_mov_b64 s[6:7], 0
.LBB21_237:
	s_andn2_b64 vcc, exec, s[6:7]
	s_cbranch_vccnz .LBB21_253
; %bb.238:
	v_mov_b32_e32 v1, 2
	v_cmp_lt_i16_sdwa s[8:9], v29, v1 src0_sel:BYTE_0 src1_sel:DWORD
	s_mov_b64 s[6:7], -1
	s_and_b64 vcc, exec, s[8:9]
	s_cbranch_vccnz .LBB21_248
; %bb.239:
	v_mov_b32_e32 v1, 3
	v_cmp_lt_i16_sdwa s[8:9], v29, v1 src0_sel:BYTE_0 src1_sel:DWORD
	s_and_b64 vcc, exec, s[8:9]
	s_cbranch_vccnz .LBB21_245
; %bb.240:
	v_cmp_gt_i16_sdwa s[8:9], v29, v1 src0_sel:BYTE_0 src1_sel:DWORD
	s_and_b64 vcc, exec, s[8:9]
	s_cbranch_vccz .LBB21_242
; %bb.241:
	v_trunc_f32_e32 v1, v0
	s_mov_b32 s6, 0x2f800000
	v_mul_f32_e64 v4, |v1|, s6
	v_floor_f32_e32 v4, v4
	s_mov_b32 s6, 0xcf800000
	v_cvt_u32_f32_e32 v5, v4
	v_fma_f32 v4, v4, s6, |v1|
	v_cvt_u32_f32_e32 v4, v4
	v_ashrrev_i32_e32 v1, 31, v1
	v_xor_b32_e32 v5, v5, v1
	s_mov_b64 s[6:7], 0
	v_xor_b32_e32 v4, v4, v1
	v_sub_co_u32_e32 v4, vcc, v4, v1
	v_subb_co_u32_e32 v5, vcc, v5, v1, vcc
	global_store_dwordx2 v[2:3], v[4:5], off
.LBB21_242:
	s_andn2_b64 vcc, exec, s[6:7]
	s_cbranch_vccnz .LBB21_244
; %bb.243:
	v_cvt_i32_f32_e32 v1, v0
	global_store_dword v[2:3], v1, off
.LBB21_244:
	s_mov_b64 s[6:7], 0
.LBB21_245:
	s_andn2_b64 vcc, exec, s[6:7]
	s_cbranch_vccnz .LBB21_247
; %bb.246:
	v_cvt_i32_f32_e32 v1, v0
	global_store_short v[2:3], v1, off
.LBB21_247:
	s_mov_b64 s[6:7], 0
.LBB21_248:
	s_andn2_b64 vcc, exec, s[6:7]
	s_cbranch_vccnz .LBB21_253
; %bb.249:
	v_mov_b32_e32 v1, 0
	v_cmp_gt_i16_sdwa s[8:9], v29, v1 src0_sel:BYTE_0 src1_sel:DWORD
	s_mov_b64 s[6:7], -1
	s_and_b64 vcc, exec, s[8:9]
	s_cbranch_vccz .LBB21_251
; %bb.250:
	v_cvt_i32_f32_e32 v1, v0
	s_mov_b64 s[6:7], 0
	global_store_byte v[2:3], v1, off
.LBB21_251:
	s_andn2_b64 vcc, exec, s[6:7]
	s_cbranch_vccnz .LBB21_253
; %bb.252:
	v_trunc_f32_e32 v0, v0
	s_mov_b32 s6, 0x2f800000
	v_mul_f32_e64 v1, |v0|, s6
	v_floor_f32_e32 v1, v1
	s_mov_b32 s6, 0xcf800000
	v_fma_f32 v1, v1, s6, |v0|
	v_cvt_u32_f32_e32 v1, v1
	v_ashrrev_i32_e32 v0, 31, v0
	v_xor_b32_e32 v1, v1, v0
	v_sub_u32_e32 v0, v1, v0
	global_store_byte v[2:3], v0, off
.LBB21_253:
	s_branch .LBB21_138
.LBB21_254:
	s_mov_b64 s[6:7], 0
                                        ; implicit-def: $vgpr23
.LBB21_255:
	s_andn2_b64 s[8:9], s[42:43], exec
	s_and_b64 s[4:5], s[4:5], exec
	s_or_b64 s[46:47], s[8:9], s[4:5]
	s_orn2_b64 s[8:9], s[6:7], exec
.LBB21_256:
	s_or_b64 exec, exec, s[48:49]
	s_mov_b64 s[4:5], 0
	s_mov_b64 s[6:7], 0
                                        ; implicit-def: $vgpr4
                                        ; implicit-def: $vgpr2_vgpr3
                                        ; implicit-def: $vgpr0
	s_and_saveexec_b64 s[48:49], s[8:9]
	s_cbranch_execz .LBB21_467
; %bb.257:
	v_cmp_gt_i32_e32 vcc, s33, v23
	s_mov_b64 s[6:7], -1
	s_mov_b64 s[52:53], s[46:47]
	s_and_saveexec_b64 s[50:51], vcc
	s_cbranch_execz .LBB21_386
; %bb.258:
	v_mov_b32_e32 v0, s38
	v_mov_b32_e32 v1, s39
	;; [unrolled: 1-line block ×5, first 2 shown]
	s_getpc_b64 s[4:5]
	s_add_u32 s4, s4, _ZN2at6native6invokeIZZZNS0_12_GLOBAL__N_119airy_ai_kernel_cudaERNS_18TensorIteratorBaseEENKUlvE_clEvENKUlvE0_clEvEUlfE_i15function_traitsIS7_EEENT1_11result_typeERKT_PrKPcPKT0_PKN3c1010ScalarTypeEi@rel32@lo+4
	s_addc_u32 s5, s5, _ZN2at6native6invokeIZZZNS0_12_GLOBAL__N_119airy_ai_kernel_cudaERNS_18TensorIteratorBaseEENKUlvE_clEvENKUlvE0_clEvEUlfE_i15function_traitsIS7_EEENT1_11result_typeERKT_PrKPcPKT0_PKN3c1010ScalarTypeEi@rel32@hi+12
	s_swappc_b64 s[30:31], s[4:5]
	v_mul_lo_u32 v1, v23, s28
	v_ashrrev_i32_e32 v3, 31, v1
	v_mov_b32_e32 v4, s37
	v_add_co_u32_e32 v2, vcc, s36, v1
	v_mov_b32_e32 v1, 11
	v_addc_co_u32_e32 v3, vcc, v4, v3, vcc
	v_cmp_lt_i16_sdwa s[4:5], v29, v1 src0_sel:BYTE_0 src1_sel:DWORD
	s_and_b64 vcc, exec, s[4:5]
	s_cbranch_vccnz .LBB21_265
; %bb.259:
	v_mov_b32_e32 v1, 25
	v_cmp_gt_i16_sdwa s[4:5], v29, v1 src0_sel:BYTE_0 src1_sel:DWORD
	s_and_b64 vcc, exec, s[4:5]
	s_cbranch_vccz .LBB21_266
; %bb.260:
	v_mov_b32_e32 v1, 28
	v_cmp_gt_i16_sdwa s[4:5], v29, v1 src0_sel:BYTE_0 src1_sel:DWORD
	s_and_b64 vcc, exec, s[4:5]
	s_cbranch_vccz .LBB21_267
	;; [unrolled: 5-line block ×4, first 2 shown]
; %bb.263:
	v_mov_b32_e32 v1, 46
	v_cmp_eq_u16_sdwa s[6:7], v29, v1 src0_sel:BYTE_0 src1_sel:DWORD
	s_mov_b64 s[8:9], 0
	s_mov_b64 s[4:5], -1
	s_and_b64 vcc, exec, s[6:7]
	s_mov_b64 s[6:7], 0
	s_cbranch_vccz .LBB21_274
; %bb.264:
	v_bfe_u32 v1, v0, 16, 1
	s_movk_i32 s4, 0x7fff
	v_add3_u32 v1, v0, v1, s4
	v_lshrrev_b32_e32 v1, 16, v1
	v_mov_b32_e32 v4, 0x7fc0
	v_cmp_o_f32_e32 vcc, v0, v0
	v_cndmask_b32_e32 v1, v4, v1, vcc
	global_store_dword v[2:3], v1, off
	s_mov_b64 s[6:7], -1
	s_mov_b64 s[4:5], 0
	s_branch .LBB21_274
.LBB21_265:
	s_mov_b64 s[8:9], -1
	s_mov_b64 s[6:7], 0
	s_mov_b64 s[4:5], s[46:47]
	s_branch .LBB21_343
.LBB21_266:
	s_mov_b64 s[8:9], -1
	s_mov_b64 s[6:7], 0
	s_mov_b64 s[4:5], s[46:47]
	s_branch .LBB21_301
.LBB21_267:
	s_mov_b64 s[8:9], -1
	s_mov_b64 s[6:7], 0
	s_mov_b64 s[4:5], s[46:47]
	s_branch .LBB21_284
.LBB21_268:
	s_or_saveexec_b64 s[10:11], s[10:11]
                                        ; implicit-def: $sgpr12
	s_xor_b64 exec, exec, s[10:11]
	s_cbranch_execz .LBB21_168
.LBB21_269:
	s_mov_b32 s12, 0x46000000
	v_add_f32_e64 v1, |v0|, s12
	v_and_b32_e32 v1, 0xff, v1
	v_cmp_ne_u32_e32 vcc, 0, v1
	s_andn2_b64 s[8:9], s[8:9], exec
	s_and_b64 s[14:15], vcc, exec
	s_mov_b32 s12, 0
	s_or_b64 s[8:9], s[8:9], s[14:15]
	s_or_b64 exec, exec, s[10:11]
	v_mov_b32_e32 v4, s12
	s_and_saveexec_b64 s[10:11], s[8:9]
	s_cbranch_execnz .LBB21_169
	s_branch .LBB21_170
.LBB21_270:
	s_mov_b64 s[8:9], -1
	s_mov_b64 s[6:7], 0
	s_mov_b64 s[4:5], s[46:47]
	s_branch .LBB21_280
.LBB21_271:
	s_or_saveexec_b64 s[10:11], s[10:11]
                                        ; implicit-def: $sgpr12
	s_xor_b64 exec, exec, s[10:11]
	s_cbranch_execz .LBB21_181
.LBB21_272:
	s_mov_b32 s12, 0x42800000
	v_add_f32_e64 v1, |v0|, s12
	v_and_b32_e32 v1, 0xff, v1
	v_cmp_ne_u32_e32 vcc, 0, v1
	s_andn2_b64 s[8:9], s[8:9], exec
	s_and_b64 s[14:15], vcc, exec
	s_mov_b32 s12, 0
	s_or_b64 s[8:9], s[8:9], s[14:15]
	s_or_b64 exec, exec, s[10:11]
	v_mov_b32_e32 v4, s12
	s_and_saveexec_b64 s[10:11], s[8:9]
	s_cbranch_execnz .LBB21_182
	s_branch .LBB21_183
.LBB21_273:
	s_mov_b64 s[8:9], -1
	s_mov_b64 s[6:7], 0
	s_mov_b64 s[4:5], s[46:47]
.LBB21_274:
	s_and_b64 vcc, exec, s[8:9]
	s_cbranch_vccz .LBB21_279
; %bb.275:
	v_mov_b32_e32 v1, 44
	v_cmp_eq_u16_sdwa s[8:9], v29, v1 src0_sel:BYTE_0 src1_sel:DWORD
	s_mov_b64 s[4:5], -1
	s_and_b64 vcc, exec, s[8:9]
	s_cbranch_vccz .LBB21_279
; %bb.276:
	v_bfe_u32 v1, v0, 23, 8
	s_movk_i32 s4, 0xff
	v_cmp_ne_u32_e32 vcc, s4, v1
	v_mov_b32_e32 v4, 0xff
	s_and_saveexec_b64 s[6:7], vcc
; %bb.277:
	s_mov_b32 s4, 0x3fffff
	v_and_b32_e32 v5, 0x400000, v0
	v_and_or_b32 v1, v0, s4, v1
	v_cmp_ne_u32_e32 vcc, 0, v5
	v_cmp_ne_u32_e64 s[4:5], 0, v1
	s_and_b64 s[4:5], vcc, s[4:5]
	v_lshrrev_b32_e32 v4, 23, v0
	v_cndmask_b32_e64 v1, 0, 1, s[4:5]
	v_add_u32_e32 v4, v4, v1
; %bb.278:
	s_or_b64 exec, exec, s[6:7]
	s_mov_b64 s[6:7], -1
	s_mov_b64 s[4:5], 0
	global_store_byte v[2:3], v4, off
.LBB21_279:
	s_mov_b64 s[8:9], 0
.LBB21_280:
	s_and_b64 vcc, exec, s[8:9]
	s_cbranch_vccz .LBB21_283
; %bb.281:
	v_mov_b32_e32 v1, 29
	v_cmp_eq_u16_sdwa s[8:9], v29, v1 src0_sel:BYTE_0 src1_sel:DWORD
	s_mov_b64 s[4:5], -1
	s_and_b64 vcc, exec, s[8:9]
	s_cbranch_vccz .LBB21_283
; %bb.282:
	v_trunc_f32_e32 v1, v0
	v_mul_f32_e32 v4, 0x2f800000, v1
	v_floor_f32_e32 v4, v4
	v_fmac_f32_e32 v1, 0xcf800000, v4
	v_cvt_u32_f32_e32 v5, v4
	v_cvt_u32_f32_e32 v4, v1
	s_mov_b64 s[6:7], -1
	s_mov_b64 s[4:5], 0
	s_mov_b64 s[8:9], 0
	global_store_dwordx2 v[2:3], v[4:5], off
	s_branch .LBB21_284
.LBB21_283:
	s_mov_b64 s[8:9], 0
.LBB21_284:
	s_and_b64 vcc, exec, s[8:9]
	s_cbranch_vccz .LBB21_300
; %bb.285:
	v_mov_b32_e32 v1, 27
	v_cmp_lt_i16_sdwa s[8:9], v29, v1 src0_sel:BYTE_0 src1_sel:DWORD
	s_mov_b64 s[6:7], -1
	s_and_b64 vcc, exec, s[8:9]
	s_cbranch_vccnz .LBB21_291
; %bb.286:
	v_cmp_gt_i16_sdwa s[8:9], v29, v1 src0_sel:BYTE_0 src1_sel:DWORD
	v_cvt_u32_f32_e32 v1, v0
	s_and_b64 vcc, exec, s[8:9]
	s_cbranch_vccz .LBB21_288
; %bb.287:
	s_mov_b64 s[6:7], 0
	global_store_dword v[2:3], v1, off
.LBB21_288:
	s_andn2_b64 vcc, exec, s[6:7]
	s_cbranch_vccnz .LBB21_290
; %bb.289:
	global_store_short v[2:3], v1, off
.LBB21_290:
	s_mov_b64 s[6:7], 0
.LBB21_291:
	s_andn2_b64 vcc, exec, s[6:7]
	s_cbranch_vccnz .LBB21_299
; %bb.292:
	v_and_b32_e32 v1, 0x7fffffff, v0
	s_mov_b32 s6, 0x43800000
	v_cmp_gt_u32_e32 vcc, s6, v1
	v_mov_b32_e32 v4, 0x80
	s_and_saveexec_b64 s[6:7], vcc
	s_cbranch_execz .LBB21_298
; %bb.293:
	s_mov_b32 s8, 0x3bffffff
	v_cmp_lt_u32_e32 vcc, s8, v1
	s_mov_b64 s[8:9], 0
                                        ; implicit-def: $vgpr1
	s_and_saveexec_b64 s[10:11], vcc
	s_xor_b64 s[10:11], exec, s[10:11]
	s_cbranch_execz .LBB21_1006
; %bb.294:
	v_bfe_u32 v1, v0, 20, 1
	s_mov_b32 s12, 0x487ffff
	v_add3_u32 v1, v0, v1, s12
	s_mov_b64 s[8:9], exec
	v_lshrrev_b32_e32 v1, 20, v1
	s_or_saveexec_b64 s[10:11], s[10:11]
                                        ; implicit-def: $sgpr12
	s_xor_b64 exec, exec, s[10:11]
	s_cbranch_execnz .LBB21_1007
.LBB21_295:
	s_or_b64 exec, exec, s[10:11]
	v_mov_b32_e32 v4, s12
	s_and_saveexec_b64 s[10:11], s[8:9]
.LBB21_296:
	v_lshrrev_b32_e32 v4, 24, v0
	s_movk_i32 s8, 0x80
	v_and_or_b32 v4, v4, s8, v1
.LBB21_297:
	s_or_b64 exec, exec, s[10:11]
.LBB21_298:
	s_or_b64 exec, exec, s[6:7]
	global_store_byte v[2:3], v4, off
.LBB21_299:
	s_mov_b64 s[6:7], -1
.LBB21_300:
	s_mov_b64 s[8:9], 0
.LBB21_301:
	s_and_b64 vcc, exec, s[8:9]
	s_cbranch_vccz .LBB21_342
; %bb.302:
	v_mov_b32_e32 v1, 22
	v_cmp_gt_i16_sdwa s[10:11], v29, v1 src0_sel:BYTE_0 src1_sel:DWORD
	s_mov_b64 s[8:9], -1
	s_and_b64 vcc, exec, s[10:11]
	s_cbranch_vccz .LBB21_334
; %bb.303:
	v_mov_b32_e32 v1, 24
	v_cmp_lt_i16_sdwa s[8:9], v29, v1 src0_sel:BYTE_0 src1_sel:DWORD
	s_mov_b64 s[6:7], -1
	s_and_b64 vcc, exec, s[8:9]
	s_cbranch_vccnz .LBB21_323
; %bb.304:
	v_cmp_gt_i16_sdwa s[8:9], v29, v1 src0_sel:BYTE_0 src1_sel:DWORD
	s_and_b64 vcc, exec, s[8:9]
	s_cbranch_vccz .LBB21_312
; %bb.305:
	v_and_b32_e32 v1, 0x7fffffff, v0
	s_mov_b32 s6, 0x47800000
	v_cmp_gt_u32_e32 vcc, s6, v1
	v_mov_b32_e32 v4, 0x80
	s_and_saveexec_b64 s[6:7], vcc
	s_cbranch_execz .LBB21_311
; %bb.306:
	s_mov_b32 s8, 0x37ffffff
	v_cmp_lt_u32_e32 vcc, s8, v1
	s_mov_b64 s[8:9], 0
                                        ; implicit-def: $vgpr1
	s_and_saveexec_b64 s[10:11], vcc
	s_xor_b64 s[10:11], exec, s[10:11]
	s_cbranch_execz .LBB21_1013
; %bb.307:
	v_bfe_u32 v1, v0, 21, 1
	s_mov_b32 s12, 0x88fffff
	v_add3_u32 v1, v0, v1, s12
	s_mov_b64 s[8:9], exec
	v_lshrrev_b32_e32 v1, 21, v1
	s_or_saveexec_b64 s[10:11], s[10:11]
                                        ; implicit-def: $sgpr12
	s_xor_b64 exec, exec, s[10:11]
	s_cbranch_execnz .LBB21_1014
.LBB21_308:
	s_or_b64 exec, exec, s[10:11]
	v_mov_b32_e32 v4, s12
	s_and_saveexec_b64 s[10:11], s[8:9]
.LBB21_309:
	v_lshrrev_b32_e32 v4, 24, v0
	s_movk_i32 s8, 0x80
	v_and_or_b32 v4, v4, s8, v1
.LBB21_310:
	s_or_b64 exec, exec, s[10:11]
.LBB21_311:
	s_or_b64 exec, exec, s[6:7]
	s_mov_b64 s[6:7], 0
	global_store_byte v[2:3], v4, off
.LBB21_312:
	s_and_b64 vcc, exec, s[6:7]
	s_cbranch_vccz .LBB21_322
; %bb.313:
	v_and_b32_e32 v4, 0x7fffffff, v0
	s_mov_b32 s6, 0x43f00000
	v_cmp_gt_u32_e32 vcc, s6, v4
                                        ; implicit-def: $vgpr1
	s_and_saveexec_b64 s[6:7], vcc
	s_xor_b64 s[6:7], exec, s[6:7]
	s_cbranch_execz .LBB21_319
; %bb.314:
	s_mov_b32 s8, 0x3c7fffff
	v_cmp_lt_u32_e32 vcc, s8, v4
                                        ; implicit-def: $vgpr1
	s_and_saveexec_b64 s[8:9], vcc
	s_xor_b64 s[8:9], exec, s[8:9]
; %bb.315:
	v_bfe_u32 v1, v0, 20, 1
	s_mov_b32 s10, 0x407ffff
	v_add3_u32 v1, v0, v1, s10
	v_lshrrev_b32_e32 v4, 20, v1
	v_and_b32_e32 v1, 0xff00000, v1
	s_mov_b32 s10, 0x7f00000
	v_mov_b32_e32 v5, 0x7e
	v_cmp_ne_u32_e32 vcc, s10, v1
	v_cndmask_b32_e32 v1, v5, v4, vcc
; %bb.316:
	s_andn2_saveexec_b64 s[8:9], s[8:9]
; %bb.317:
	s_mov_b32 s10, 0x46800000
	v_add_f32_e64 v1, |v0|, s10
; %bb.318:
	s_or_b64 exec, exec, s[8:9]
                                        ; implicit-def: $vgpr4
.LBB21_319:
	s_andn2_saveexec_b64 s[6:7], s[6:7]
; %bb.320:
	s_mov_b32 s8, 0x7f800000
	v_mov_b32_e32 v1, 0x7e
	v_mov_b32_e32 v5, 0x7f
	v_cmp_lt_u32_e32 vcc, s8, v4
	v_cndmask_b32_e32 v1, v1, v5, vcc
; %bb.321:
	s_or_b64 exec, exec, s[6:7]
	v_lshrrev_b32_e32 v4, 24, v0
	s_movk_i32 s6, 0x80
	v_and_or_b32 v1, v4, s6, v1
	global_store_byte v[2:3], v1, off
.LBB21_322:
	s_mov_b64 s[6:7], 0
.LBB21_323:
	s_andn2_b64 vcc, exec, s[6:7]
	s_cbranch_vccnz .LBB21_333
; %bb.324:
	v_and_b32_e32 v4, 0x7fffffff, v0
	s_mov_b32 s6, 0x47800000
	v_cmp_gt_u32_e32 vcc, s6, v4
                                        ; implicit-def: $vgpr1
	s_and_saveexec_b64 s[6:7], vcc
	s_xor_b64 s[6:7], exec, s[6:7]
	s_cbranch_execz .LBB21_330
; %bb.325:
	s_mov_b32 s8, 0x387fffff
	v_cmp_lt_u32_e32 vcc, s8, v4
                                        ; implicit-def: $vgpr1
	s_and_saveexec_b64 s[8:9], vcc
	s_xor_b64 s[8:9], exec, s[8:9]
; %bb.326:
	v_bfe_u32 v1, v0, 21, 1
	s_mov_b32 s10, 0x80fffff
	v_add3_u32 v1, v0, v1, s10
	v_lshrrev_b32_e32 v1, 21, v1
; %bb.327:
	s_andn2_saveexec_b64 s[8:9], s[8:9]
; %bb.328:
	s_mov_b32 s10, 0x43000000
	v_add_f32_e64 v1, |v0|, s10
; %bb.329:
	s_or_b64 exec, exec, s[8:9]
                                        ; implicit-def: $vgpr4
.LBB21_330:
	s_andn2_saveexec_b64 s[6:7], s[6:7]
; %bb.331:
	s_mov_b32 s8, 0x7f800000
	v_mov_b32_e32 v1, 0x7c
	v_mov_b32_e32 v5, 0x7f
	v_cmp_lt_u32_e32 vcc, s8, v4
	v_cndmask_b32_e32 v1, v1, v5, vcc
; %bb.332:
	s_or_b64 exec, exec, s[6:7]
	v_lshrrev_b32_e32 v4, 24, v0
	s_movk_i32 s6, 0x80
	v_and_or_b32 v1, v4, s6, v1
	global_store_byte v[2:3], v1, off
.LBB21_333:
	s_mov_b64 s[8:9], 0
	s_mov_b64 s[6:7], -1
.LBB21_334:
	s_andn2_b64 vcc, exec, s[8:9]
	s_cbranch_vccnz .LBB21_342
; %bb.335:
	v_mov_b32_e32 v1, 14
	v_cmp_gt_i16_sdwa s[10:11], v29, v1 src0_sel:BYTE_0 src1_sel:DWORD
	s_mov_b64 s[8:9], -1
	s_and_b64 vcc, exec, s[10:11]
	s_cbranch_vccz .LBB21_339
; %bb.336:
	v_mov_b32_e32 v1, 15
	v_cmp_eq_u16_sdwa s[8:9], v29, v1 src0_sel:BYTE_0 src1_sel:DWORD
	s_mov_b64 s[4:5], -1
	s_and_b64 vcc, exec, s[8:9]
	s_cbranch_vccz .LBB21_338
; %bb.337:
	v_bfe_u32 v1, v0, 16, 1
	s_movk_i32 s4, 0x7fff
	v_add3_u32 v1, v0, v1, s4
	v_lshrrev_b32_e32 v1, 16, v1
	v_mov_b32_e32 v4, 0x7fc0
	v_cmp_o_f32_e32 vcc, v0, v0
	v_cndmask_b32_e32 v1, v4, v1, vcc
	global_store_short v[2:3], v1, off
	s_mov_b64 s[6:7], -1
	s_mov_b64 s[4:5], 0
.LBB21_338:
	s_mov_b64 s[8:9], 0
.LBB21_339:
	s_and_b64 vcc, exec, s[8:9]
	s_cbranch_vccz .LBB21_342
; %bb.340:
	v_mov_b32_e32 v1, 11
	v_cmp_eq_u16_sdwa s[8:9], v29, v1 src0_sel:BYTE_0 src1_sel:DWORD
	s_mov_b64 s[4:5], -1
	s_and_b64 vcc, exec, s[8:9]
	s_cbranch_vccz .LBB21_342
; %bb.341:
	v_cmp_neq_f32_e32 vcc, 0, v0
	v_cndmask_b32_e64 v1, 0, 1, vcc
	s_mov_b64 s[6:7], -1
	s_mov_b64 s[4:5], 0
	global_store_byte v[2:3], v1, off
.LBB21_342:
	s_mov_b64 s[8:9], 0
.LBB21_343:
	s_and_b64 vcc, exec, s[8:9]
	s_cbranch_vccz .LBB21_382
; %bb.344:
	v_mov_b32_e32 v1, 5
	v_cmp_lt_i16_sdwa s[8:9], v29, v1 src0_sel:BYTE_0 src1_sel:DWORD
	s_mov_b64 s[6:7], -1
	s_and_b64 vcc, exec, s[8:9]
	s_cbranch_vccnz .LBB21_365
; %bb.345:
	v_mov_b32_e32 v1, 8
	v_cmp_lt_i16_sdwa s[8:9], v29, v1 src0_sel:BYTE_0 src1_sel:DWORD
	s_and_b64 vcc, exec, s[8:9]
	s_cbranch_vccnz .LBB21_355
; %bb.346:
	v_mov_b32_e32 v1, 9
	v_cmp_lt_i16_sdwa s[8:9], v29, v1 src0_sel:BYTE_0 src1_sel:DWORD
	s_and_b64 vcc, exec, s[8:9]
	s_cbranch_vccnz .LBB21_352
; %bb.347:
	v_cmp_gt_i16_sdwa s[8:9], v29, v1 src0_sel:BYTE_0 src1_sel:DWORD
	s_and_b64 vcc, exec, s[8:9]
	s_cbranch_vccz .LBB21_349
; %bb.348:
	v_mov_b32_e32 v6, 0
	v_cvt_f64_f32_e32 v[4:5], v0
	v_mov_b32_e32 v7, v6
	s_mov_b64 s[6:7], 0
	global_store_dwordx4 v[2:3], v[4:7], off
.LBB21_349:
	s_andn2_b64 vcc, exec, s[6:7]
	s_cbranch_vccnz .LBB21_351
; %bb.350:
	v_mov_b32_e32 v1, 0
	global_store_dwordx2 v[2:3], v[0:1], off
.LBB21_351:
	s_mov_b64 s[6:7], 0
.LBB21_352:
	s_andn2_b64 vcc, exec, s[6:7]
	s_cbranch_vccnz .LBB21_354
; %bb.353:
	v_cvt_f16_f32_e32 v1, v0
	global_store_dword v[2:3], v1, off
.LBB21_354:
	s_mov_b64 s[6:7], 0
.LBB21_355:
	s_andn2_b64 vcc, exec, s[6:7]
	s_cbranch_vccnz .LBB21_364
; %bb.356:
	v_mov_b32_e32 v1, 6
	v_cmp_lt_i16_sdwa s[8:9], v29, v1 src0_sel:BYTE_0 src1_sel:DWORD
	s_mov_b64 s[6:7], -1
	s_and_b64 vcc, exec, s[8:9]
	s_cbranch_vccnz .LBB21_362
; %bb.357:
	v_cmp_gt_i16_sdwa s[8:9], v29, v1 src0_sel:BYTE_0 src1_sel:DWORD
	s_and_b64 vcc, exec, s[8:9]
	s_cbranch_vccz .LBB21_359
; %bb.358:
	v_cvt_f64_f32_e32 v[4:5], v0
	s_mov_b64 s[6:7], 0
	global_store_dwordx2 v[2:3], v[4:5], off
.LBB21_359:
	s_andn2_b64 vcc, exec, s[6:7]
	s_cbranch_vccnz .LBB21_361
; %bb.360:
	global_store_dword v[2:3], v0, off
.LBB21_361:
	s_mov_b64 s[6:7], 0
.LBB21_362:
	s_andn2_b64 vcc, exec, s[6:7]
	s_cbranch_vccnz .LBB21_364
; %bb.363:
	v_cvt_f16_f32_e32 v1, v0
	global_store_short v[2:3], v1, off
.LBB21_364:
	s_mov_b64 s[6:7], 0
.LBB21_365:
	s_andn2_b64 vcc, exec, s[6:7]
	s_cbranch_vccnz .LBB21_381
; %bb.366:
	v_mov_b32_e32 v1, 2
	v_cmp_lt_i16_sdwa s[8:9], v29, v1 src0_sel:BYTE_0 src1_sel:DWORD
	s_mov_b64 s[6:7], -1
	s_and_b64 vcc, exec, s[8:9]
	s_cbranch_vccnz .LBB21_376
; %bb.367:
	v_mov_b32_e32 v1, 3
	v_cmp_lt_i16_sdwa s[8:9], v29, v1 src0_sel:BYTE_0 src1_sel:DWORD
	s_and_b64 vcc, exec, s[8:9]
	s_cbranch_vccnz .LBB21_373
; %bb.368:
	v_cmp_gt_i16_sdwa s[8:9], v29, v1 src0_sel:BYTE_0 src1_sel:DWORD
	s_and_b64 vcc, exec, s[8:9]
	s_cbranch_vccz .LBB21_370
; %bb.369:
	v_trunc_f32_e32 v1, v0
	s_mov_b32 s6, 0x2f800000
	v_mul_f32_e64 v4, |v1|, s6
	v_floor_f32_e32 v4, v4
	s_mov_b32 s6, 0xcf800000
	v_cvt_u32_f32_e32 v5, v4
	v_fma_f32 v4, v4, s6, |v1|
	v_cvt_u32_f32_e32 v4, v4
	v_ashrrev_i32_e32 v1, 31, v1
	v_xor_b32_e32 v5, v5, v1
	s_mov_b64 s[6:7], 0
	v_xor_b32_e32 v4, v4, v1
	v_sub_co_u32_e32 v4, vcc, v4, v1
	v_subb_co_u32_e32 v5, vcc, v5, v1, vcc
	global_store_dwordx2 v[2:3], v[4:5], off
.LBB21_370:
	s_andn2_b64 vcc, exec, s[6:7]
	s_cbranch_vccnz .LBB21_372
; %bb.371:
	v_cvt_i32_f32_e32 v1, v0
	global_store_dword v[2:3], v1, off
.LBB21_372:
	s_mov_b64 s[6:7], 0
.LBB21_373:
	s_andn2_b64 vcc, exec, s[6:7]
	s_cbranch_vccnz .LBB21_375
; %bb.374:
	v_cvt_i32_f32_e32 v1, v0
	global_store_short v[2:3], v1, off
.LBB21_375:
	s_mov_b64 s[6:7], 0
.LBB21_376:
	s_andn2_b64 vcc, exec, s[6:7]
	s_cbranch_vccnz .LBB21_381
; %bb.377:
	v_mov_b32_e32 v1, 0
	v_cmp_gt_i16_sdwa s[8:9], v29, v1 src0_sel:BYTE_0 src1_sel:DWORD
	s_mov_b64 s[6:7], -1
	s_and_b64 vcc, exec, s[8:9]
	s_cbranch_vccz .LBB21_379
; %bb.378:
	v_cvt_i32_f32_e32 v1, v0
	s_mov_b64 s[6:7], 0
	global_store_byte v[2:3], v1, off
.LBB21_379:
	s_andn2_b64 vcc, exec, s[6:7]
	s_cbranch_vccnz .LBB21_381
; %bb.380:
	v_trunc_f32_e32 v0, v0
	s_mov_b32 s6, 0x2f800000
	v_mul_f32_e64 v1, |v0|, s6
	v_floor_f32_e32 v1, v1
	s_mov_b32 s6, 0xcf800000
	v_fma_f32 v1, v1, s6, |v0|
	v_cvt_u32_f32_e32 v1, v1
	v_ashrrev_i32_e32 v0, 31, v0
	v_xor_b32_e32 v1, v1, v0
	v_sub_u32_e32 v0, v1, v0
	global_store_byte v[2:3], v0, off
.LBB21_381:
	s_mov_b64 s[6:7], -1
.LBB21_382:
	s_andn2_b64 vcc, exec, s[6:7]
	s_cbranch_vccnz .LBB21_384
; %bb.383:
	v_add_u32_e32 v23, 0x80, v23
	s_mov_b64 s[6:7], -1
	s_branch .LBB21_385
.LBB21_384:
	s_mov_b64 s[6:7], 0
                                        ; implicit-def: $vgpr23
.LBB21_385:
	s_andn2_b64 s[8:9], s[46:47], exec
	s_and_b64 s[4:5], s[4:5], exec
	s_or_b64 s[52:53], s[8:9], s[4:5]
	s_orn2_b64 s[6:7], s[6:7], exec
.LBB21_386:
	s_or_b64 exec, exec, s[50:51]
	s_mov_b64 s[4:5], 0
	s_mov_b64 s[10:11], 0
                                        ; implicit-def: $vgpr4
                                        ; implicit-def: $vgpr2_vgpr3
                                        ; implicit-def: $vgpr0
	s_and_saveexec_b64 s[50:51], s[6:7]
	s_cbranch_execz .LBB21_466
; %bb.387:
	v_cmp_gt_i32_e32 vcc, s33, v23
	s_mov_b64 s[6:7], 0
	s_mov_b64 s[8:9], s[52:53]
                                        ; implicit-def: $vgpr4
                                        ; implicit-def: $vgpr2_vgpr3
                                        ; implicit-def: $vgpr0
	s_and_saveexec_b64 s[54:55], vcc
	s_cbranch_execz .LBB21_465
; %bb.388:
	v_mov_b32_e32 v0, s38
	v_mov_b32_e32 v1, s39
	;; [unrolled: 1-line block ×5, first 2 shown]
	s_getpc_b64 s[4:5]
	s_add_u32 s4, s4, _ZN2at6native6invokeIZZZNS0_12_GLOBAL__N_119airy_ai_kernel_cudaERNS_18TensorIteratorBaseEENKUlvE_clEvENKUlvE0_clEvEUlfE_i15function_traitsIS7_EEENT1_11result_typeERKT_PrKPcPKT0_PKN3c1010ScalarTypeEi@rel32@lo+4
	s_addc_u32 s5, s5, _ZN2at6native6invokeIZZZNS0_12_GLOBAL__N_119airy_ai_kernel_cudaERNS_18TensorIteratorBaseEENKUlvE_clEvENKUlvE0_clEvEUlfE_i15function_traitsIS7_EEENT1_11result_typeERKT_PrKPcPKT0_PKN3c1010ScalarTypeEi@rel32@hi+12
	s_swappc_b64 s[30:31], s[4:5]
	v_mul_lo_u32 v1, v23, s28
	v_ashrrev_i32_e32 v3, 31, v1
	v_mov_b32_e32 v4, s37
	v_add_co_u32_e32 v2, vcc, s36, v1
	v_addc_co_u32_e32 v3, vcc, v4, v3, vcc
	v_and_b32_e32 v4, 0xff, v29
	v_cmp_gt_i16_e32 vcc, 11, v4
	s_cbranch_vccnz .LBB21_405
; %bb.389:
	v_cmp_lt_i16_e32 vcc, 25, v4
	s_mov_b64 s[8:9], -1
	s_mov_b64 s[4:5], s[52:53]
	s_cbranch_vccz .LBB21_423
; %bb.390:
	v_cmp_lt_i16_e32 vcc, 28, v4
	s_mov_b64 s[6:7], -1
	s_mov_b64 s[4:5], s[52:53]
	s_cbranch_vccz .LBB21_407
; %bb.391:
	v_cmp_lt_i16_e32 vcc, 43, v4
	s_mov_b64 s[4:5], s[52:53]
	s_cbranch_vccz .LBB21_402
; %bb.392:
	v_cmp_lt_i16_e32 vcc, 45, v4
	s_mov_b64 s[4:5], s[52:53]
	s_cbranch_vccz .LBB21_396
; %bb.393:
	v_cmp_eq_u16_e32 vcc, 46, v4
	s_mov_b64 s[4:5], -1
	s_cbranch_vccz .LBB21_395
; %bb.394:
	v_bfe_u32 v1, v0, 16, 1
	s_movk_i32 s4, 0x7fff
	v_add3_u32 v1, v0, v1, s4
	v_lshrrev_b32_e32 v1, 16, v1
	v_mov_b32_e32 v5, 0x7fc0
	v_cmp_o_f32_e32 vcc, v0, v0
	v_cndmask_b32_e32 v1, v5, v1, vcc
	global_store_dword v[2:3], v1, off
	s_mov_b64 s[4:5], 0
.LBB21_395:
	s_mov_b64 s[6:7], 0
.LBB21_396:
	s_and_b64 vcc, exec, s[6:7]
	s_cbranch_vccz .LBB21_401
; %bb.397:
	v_cmp_eq_u16_e32 vcc, 44, v4
	s_mov_b64 s[4:5], -1
	s_cbranch_vccz .LBB21_401
; %bb.398:
	v_bfe_u32 v1, v0, 23, 8
	s_movk_i32 s4, 0xff
	v_cmp_ne_u32_e32 vcc, s4, v1
	v_mov_b32_e32 v5, 0xff
	s_and_saveexec_b64 s[6:7], vcc
; %bb.399:
	s_mov_b32 s4, 0x3fffff
	v_and_b32_e32 v6, 0x400000, v0
	v_and_or_b32 v1, v0, s4, v1
	v_cmp_ne_u32_e32 vcc, 0, v6
	v_cmp_ne_u32_e64 s[4:5], 0, v1
	s_and_b64 s[4:5], vcc, s[4:5]
	v_lshrrev_b32_e32 v5, 23, v0
	v_cndmask_b32_e64 v1, 0, 1, s[4:5]
	v_add_u32_e32 v5, v5, v1
; %bb.400:
	s_or_b64 exec, exec, s[6:7]
	s_mov_b64 s[4:5], 0
	global_store_byte v[2:3], v5, off
.LBB21_401:
	s_mov_b64 s[6:7], 0
.LBB21_402:
	s_and_b64 vcc, exec, s[6:7]
	s_cbranch_vccz .LBB21_406
; %bb.403:
	v_cmp_eq_u16_e32 vcc, 29, v4
	s_mov_b64 s[4:5], -1
	s_cbranch_vccz .LBB21_406
; %bb.404:
	v_trunc_f32_e32 v1, v0
	v_mul_f32_e32 v5, 0x2f800000, v1
	v_floor_f32_e32 v5, v5
	v_fmac_f32_e32 v1, 0xcf800000, v5
	v_cvt_u32_f32_e32 v7, v5
	v_cvt_u32_f32_e32 v6, v1
	s_mov_b64 s[4:5], 0
	s_mov_b64 s[6:7], 0
	global_store_dwordx2 v[2:3], v[6:7], off
	s_branch .LBB21_407
.LBB21_405:
	s_mov_b64 s[8:9], 0
	s_mov_b64 s[6:7], -1
	s_mov_b64 s[4:5], s[52:53]
	s_branch .LBB21_464
.LBB21_406:
	s_mov_b64 s[6:7], 0
.LBB21_407:
	s_and_b64 vcc, exec, s[6:7]
	s_cbranch_vccz .LBB21_422
; %bb.408:
	v_cmp_gt_i16_e32 vcc, 27, v4
	s_mov_b64 s[6:7], -1
	s_cbranch_vccnz .LBB21_414
; %bb.409:
	v_cvt_u32_f32_e32 v1, v0
	v_cmp_lt_i16_e32 vcc, 27, v4
	s_cbranch_vccz .LBB21_411
; %bb.410:
	s_mov_b64 s[6:7], 0
	global_store_dword v[2:3], v1, off
.LBB21_411:
	s_andn2_b64 vcc, exec, s[6:7]
	s_cbranch_vccnz .LBB21_413
; %bb.412:
	global_store_short v[2:3], v1, off
.LBB21_413:
	s_mov_b64 s[6:7], 0
.LBB21_414:
	s_andn2_b64 vcc, exec, s[6:7]
	s_cbranch_vccnz .LBB21_422
; %bb.415:
	v_and_b32_e32 v1, 0x7fffffff, v0
	s_mov_b32 s6, 0x43800000
	v_cmp_gt_u32_e32 vcc, s6, v1
	v_mov_b32_e32 v5, 0x80
	s_and_saveexec_b64 s[6:7], vcc
	s_cbranch_execz .LBB21_421
; %bb.416:
	s_mov_b32 s8, 0x3bffffff
	v_cmp_lt_u32_e32 vcc, s8, v1
	s_mov_b64 s[8:9], 0
                                        ; implicit-def: $vgpr1
	s_and_saveexec_b64 s[10:11], vcc
	s_xor_b64 s[10:11], exec, s[10:11]
	s_cbranch_execz .LBB21_1015
; %bb.417:
	v_bfe_u32 v1, v0, 20, 1
	s_mov_b32 s12, 0x487ffff
	v_add3_u32 v1, v0, v1, s12
	s_mov_b64 s[8:9], exec
	v_lshrrev_b32_e32 v1, 20, v1
	s_or_saveexec_b64 s[10:11], s[10:11]
                                        ; implicit-def: $sgpr12
	s_xor_b64 exec, exec, s[10:11]
	s_cbranch_execnz .LBB21_1016
.LBB21_418:
	s_or_b64 exec, exec, s[10:11]
	v_mov_b32_e32 v5, s12
	s_and_saveexec_b64 s[10:11], s[8:9]
.LBB21_419:
	v_lshrrev_b32_e32 v5, 24, v0
	s_movk_i32 s8, 0x80
	v_and_or_b32 v5, v5, s8, v1
.LBB21_420:
	s_or_b64 exec, exec, s[10:11]
.LBB21_421:
	s_or_b64 exec, exec, s[6:7]
	global_store_byte v[2:3], v5, off
.LBB21_422:
	s_mov_b64 s[8:9], 0
.LBB21_423:
	s_mov_b64 s[6:7], 0
	s_and_b64 vcc, exec, s[8:9]
	s_cbranch_vccz .LBB21_463
; %bb.424:
	v_cmp_lt_i16_e32 vcc, 22, v4
	s_mov_b64 s[8:9], -1
	s_cbranch_vccz .LBB21_456
; %bb.425:
	v_cmp_gt_i16_e32 vcc, 24, v4
	s_cbranch_vccnz .LBB21_445
; %bb.426:
	v_cmp_lt_i16_e32 vcc, 24, v4
	s_cbranch_vccz .LBB21_434
; %bb.427:
	v_and_b32_e32 v1, 0x7fffffff, v0
	s_mov_b32 s8, 0x47800000
	v_cmp_gt_u32_e32 vcc, s8, v1
	v_mov_b32_e32 v5, 0x80
	s_and_saveexec_b64 s[8:9], vcc
	s_cbranch_execz .LBB21_433
; %bb.428:
	s_mov_b32 s10, 0x37ffffff
	v_cmp_lt_u32_e32 vcc, s10, v1
	s_mov_b64 s[10:11], 0
                                        ; implicit-def: $vgpr1
	s_and_saveexec_b64 s[12:13], vcc
	s_xor_b64 s[12:13], exec, s[12:13]
	s_cbranch_execz .LBB21_1019
; %bb.429:
	v_bfe_u32 v1, v0, 21, 1
	s_mov_b32 s14, 0x88fffff
	v_add3_u32 v1, v0, v1, s14
	s_mov_b64 s[10:11], exec
	v_lshrrev_b32_e32 v1, 21, v1
	s_or_saveexec_b64 s[12:13], s[12:13]
                                        ; implicit-def: $sgpr14
	s_xor_b64 exec, exec, s[12:13]
	s_cbranch_execnz .LBB21_1020
.LBB21_430:
	s_or_b64 exec, exec, s[12:13]
	v_mov_b32_e32 v5, s14
	s_and_saveexec_b64 s[12:13], s[10:11]
.LBB21_431:
	v_lshrrev_b32_e32 v5, 24, v0
	s_movk_i32 s10, 0x80
	v_and_or_b32 v5, v5, s10, v1
.LBB21_432:
	s_or_b64 exec, exec, s[12:13]
.LBB21_433:
	s_or_b64 exec, exec, s[8:9]
	s_mov_b64 s[8:9], 0
	global_store_byte v[2:3], v5, off
.LBB21_434:
	s_and_b64 vcc, exec, s[8:9]
	s_cbranch_vccz .LBB21_444
; %bb.435:
	v_and_b32_e32 v5, 0x7fffffff, v0
	s_mov_b32 s8, 0x43f00000
	v_cmp_gt_u32_e32 vcc, s8, v5
                                        ; implicit-def: $vgpr1
	s_and_saveexec_b64 s[8:9], vcc
	s_xor_b64 s[8:9], exec, s[8:9]
	s_cbranch_execz .LBB21_441
; %bb.436:
	s_mov_b32 s10, 0x3c7fffff
	v_cmp_lt_u32_e32 vcc, s10, v5
                                        ; implicit-def: $vgpr1
	s_and_saveexec_b64 s[10:11], vcc
	s_xor_b64 s[10:11], exec, s[10:11]
; %bb.437:
	v_bfe_u32 v1, v0, 20, 1
	s_mov_b32 s12, 0x407ffff
	v_add3_u32 v1, v0, v1, s12
	v_lshrrev_b32_e32 v5, 20, v1
	v_and_b32_e32 v1, 0xff00000, v1
	s_mov_b32 s12, 0x7f00000
	v_mov_b32_e32 v6, 0x7e
	v_cmp_ne_u32_e32 vcc, s12, v1
	v_cndmask_b32_e32 v1, v6, v5, vcc
; %bb.438:
	s_andn2_saveexec_b64 s[10:11], s[10:11]
; %bb.439:
	s_mov_b32 s12, 0x46800000
	v_add_f32_e64 v1, |v0|, s12
; %bb.440:
	s_or_b64 exec, exec, s[10:11]
                                        ; implicit-def: $vgpr5
.LBB21_441:
	s_andn2_saveexec_b64 s[8:9], s[8:9]
; %bb.442:
	s_mov_b32 s10, 0x7f800000
	v_mov_b32_e32 v1, 0x7e
	v_mov_b32_e32 v6, 0x7f
	v_cmp_lt_u32_e32 vcc, s10, v5
	v_cndmask_b32_e32 v1, v1, v6, vcc
; %bb.443:
	s_or_b64 exec, exec, s[8:9]
	v_lshrrev_b32_e32 v5, 24, v0
	s_movk_i32 s8, 0x80
	v_and_or_b32 v1, v5, s8, v1
	global_store_byte v[2:3], v1, off
.LBB21_444:
	s_mov_b64 s[8:9], 0
.LBB21_445:
	s_andn2_b64 vcc, exec, s[8:9]
	s_cbranch_vccnz .LBB21_455
; %bb.446:
	v_and_b32_e32 v5, 0x7fffffff, v0
	s_mov_b32 s8, 0x47800000
	v_cmp_gt_u32_e32 vcc, s8, v5
                                        ; implicit-def: $vgpr1
	s_and_saveexec_b64 s[8:9], vcc
	s_xor_b64 s[8:9], exec, s[8:9]
	s_cbranch_execz .LBB21_452
; %bb.447:
	s_mov_b32 s10, 0x387fffff
	v_cmp_lt_u32_e32 vcc, s10, v5
                                        ; implicit-def: $vgpr1
	s_and_saveexec_b64 s[10:11], vcc
	s_xor_b64 s[10:11], exec, s[10:11]
; %bb.448:
	v_bfe_u32 v1, v0, 21, 1
	s_mov_b32 s12, 0x80fffff
	v_add3_u32 v1, v0, v1, s12
	v_lshrrev_b32_e32 v1, 21, v1
; %bb.449:
	s_andn2_saveexec_b64 s[10:11], s[10:11]
; %bb.450:
	s_mov_b32 s12, 0x43000000
	v_add_f32_e64 v1, |v0|, s12
; %bb.451:
	s_or_b64 exec, exec, s[10:11]
                                        ; implicit-def: $vgpr5
.LBB21_452:
	s_andn2_saveexec_b64 s[8:9], s[8:9]
; %bb.453:
	s_mov_b32 s10, 0x7f800000
	v_mov_b32_e32 v1, 0x7c
	v_mov_b32_e32 v6, 0x7f
	v_cmp_lt_u32_e32 vcc, s10, v5
	v_cndmask_b32_e32 v1, v1, v6, vcc
; %bb.454:
	s_or_b64 exec, exec, s[8:9]
	v_lshrrev_b32_e32 v5, 24, v0
	s_movk_i32 s8, 0x80
	v_and_or_b32 v1, v5, s8, v1
	global_store_byte v[2:3], v1, off
.LBB21_455:
	s_mov_b64 s[8:9], 0
.LBB21_456:
	s_andn2_b64 vcc, exec, s[8:9]
	s_mov_b64 s[8:9], 0
	s_cbranch_vccnz .LBB21_464
; %bb.457:
	v_cmp_lt_i16_e32 vcc, 14, v4
	s_mov_b64 s[10:11], -1
	s_cbranch_vccz .LBB21_461
; %bb.458:
	v_cmp_eq_u16_e32 vcc, 15, v4
	s_mov_b64 s[4:5], -1
	s_cbranch_vccz .LBB21_460
; %bb.459:
	v_bfe_u32 v1, v0, 16, 1
	s_movk_i32 s4, 0x7fff
	v_add3_u32 v1, v0, v1, s4
	v_lshrrev_b32_e32 v1, 16, v1
	v_mov_b32_e32 v5, 0x7fc0
	v_cmp_o_f32_e32 vcc, v0, v0
	v_cndmask_b32_e32 v1, v5, v1, vcc
	global_store_short v[2:3], v1, off
	s_mov_b64 s[4:5], 0
.LBB21_460:
	s_mov_b64 s[10:11], 0
.LBB21_461:
	s_and_b64 vcc, exec, s[10:11]
	s_cbranch_vccz .LBB21_464
; %bb.462:
	v_cmp_ne_u16_e32 vcc, 11, v4
	s_andn2_b64 s[4:5], s[4:5], exec
	s_and_b64 s[10:11], vcc, exec
	s_mov_b64 s[8:9], -1
	s_or_b64 s[4:5], s[4:5], s[10:11]
	s_branch .LBB21_464
.LBB21_463:
	s_mov_b64 s[8:9], 0
.LBB21_464:
	s_and_b64 s[10:11], s[6:7], exec
	s_and_b64 s[6:7], s[8:9], exec
	s_andn2_b64 s[8:9], s[52:53], exec
	s_and_b64 s[4:5], s[4:5], exec
	s_or_b64 s[8:9], s[8:9], s[4:5]
.LBB21_465:
	s_or_b64 exec, exec, s[54:55]
	s_and_b64 s[4:5], s[6:7], exec
	s_andn2_b64 s[6:7], s[52:53], exec
	s_and_b64 s[8:9], s[8:9], exec
	s_and_b64 s[10:11], s[10:11], exec
	s_or_b64 s[52:53], s[6:7], s[8:9]
.LBB21_466:
	s_or_b64 exec, exec, s[50:51]
	s_and_b64 s[6:7], s[10:11], exec
	s_andn2_b64 s[8:9], s[46:47], exec
	s_and_b64 s[10:11], s[52:53], exec
	s_and_b64 s[4:5], s[4:5], exec
	s_or_b64 s[46:47], s[8:9], s[10:11]
.LBB21_467:
	s_or_b64 exec, exec, s[48:49]
	s_and_b64 s[48:49], s[4:5], exec
	s_andn2_b64 s[4:5], s[42:43], exec
	s_and_b64 s[8:9], s[46:47], exec
	s_and_b64 s[6:7], s[6:7], exec
	s_or_b64 s[42:43], s[4:5], s[8:9]
	s_or_b64 exec, exec, s[44:45]
	s_mov_b64 s[4:5], 0
	s_and_saveexec_b64 s[8:9], s[42:43]
	s_cbranch_execz .LBB21_134
.LBB21_468:
	s_mov_b64 s[4:5], exec
	s_andn2_b64 s[48:49], s[48:49], exec
	s_trap 2
	s_or_b64 exec, exec, s[8:9]
	s_and_saveexec_b64 s[8:9], s[48:49]
	s_xor_b64 s[8:9], exec, s[8:9]
	s_cbranch_execnz .LBB21_135
.LBB21_469:
	s_or_b64 exec, exec, s[8:9]
	s_and_saveexec_b64 s[8:9], s[6:7]
	s_xor_b64 s[6:7], exec, s[8:9]
	s_cbranch_execz .LBB21_507
.LBB21_470:
	v_cmp_gt_i16_e32 vcc, 5, v4
	s_mov_b64 s[8:9], -1
	s_cbranch_vccnz .LBB21_491
; %bb.471:
	v_cmp_gt_i16_e32 vcc, 8, v4
	s_cbranch_vccnz .LBB21_481
; %bb.472:
	v_cmp_gt_i16_e32 vcc, 9, v4
	s_cbranch_vccnz .LBB21_478
; %bb.473:
	v_cmp_lt_i16_e32 vcc, 9, v4
	s_cbranch_vccz .LBB21_475
; %bb.474:
	v_mov_b32_e32 v8, 0
	v_cvt_f64_f32_e32 v[6:7], v0
	v_mov_b32_e32 v9, v8
	s_mov_b64 s[8:9], 0
	global_store_dwordx4 v[2:3], v[6:9], off
.LBB21_475:
	s_andn2_b64 vcc, exec, s[8:9]
	s_cbranch_vccnz .LBB21_477
; %bb.476:
	v_mov_b32_e32 v1, 0
	global_store_dwordx2 v[2:3], v[0:1], off
.LBB21_477:
	s_mov_b64 s[8:9], 0
.LBB21_478:
	s_andn2_b64 vcc, exec, s[8:9]
	s_cbranch_vccnz .LBB21_480
; %bb.479:
	v_cvt_f16_f32_e32 v1, v0
	global_store_dword v[2:3], v1, off
.LBB21_480:
	s_mov_b64 s[8:9], 0
.LBB21_481:
	s_andn2_b64 vcc, exec, s[8:9]
	s_cbranch_vccnz .LBB21_490
; %bb.482:
	v_cmp_gt_i16_e32 vcc, 6, v4
	s_mov_b64 s[8:9], -1
	s_cbranch_vccnz .LBB21_488
; %bb.483:
	v_cmp_lt_i16_e32 vcc, 6, v4
	s_cbranch_vccz .LBB21_485
; %bb.484:
	v_cvt_f64_f32_e32 v[6:7], v0
	s_mov_b64 s[8:9], 0
	global_store_dwordx2 v[2:3], v[6:7], off
.LBB21_485:
	s_andn2_b64 vcc, exec, s[8:9]
	s_cbranch_vccnz .LBB21_487
; %bb.486:
	global_store_dword v[2:3], v0, off
.LBB21_487:
	s_mov_b64 s[8:9], 0
.LBB21_488:
	s_andn2_b64 vcc, exec, s[8:9]
	s_cbranch_vccnz .LBB21_490
; %bb.489:
	v_cvt_f16_f32_e32 v1, v0
	global_store_short v[2:3], v1, off
.LBB21_490:
	s_mov_b64 s[8:9], 0
.LBB21_491:
	s_andn2_b64 vcc, exec, s[8:9]
	s_cbranch_vccnz .LBB21_507
; %bb.492:
	v_cmp_gt_i16_e32 vcc, 2, v4
	s_mov_b64 s[8:9], -1
	s_cbranch_vccnz .LBB21_502
; %bb.493:
	v_cmp_gt_i16_e32 vcc, 3, v4
	s_cbranch_vccnz .LBB21_499
; %bb.494:
	v_cmp_lt_i16_e32 vcc, 3, v4
	s_cbranch_vccz .LBB21_496
; %bb.495:
	v_trunc_f32_e32 v1, v0
	s_mov_b32 s8, 0x2f800000
	v_mul_f32_e64 v5, |v1|, s8
	v_floor_f32_e32 v5, v5
	s_mov_b32 s8, 0xcf800000
	v_cvt_u32_f32_e32 v6, v5
	v_fma_f32 v5, v5, s8, |v1|
	v_cvt_u32_f32_e32 v5, v5
	v_ashrrev_i32_e32 v1, 31, v1
	v_xor_b32_e32 v7, v6, v1
	s_mov_b64 s[8:9], 0
	v_xor_b32_e32 v5, v5, v1
	v_sub_co_u32_e32 v6, vcc, v5, v1
	v_subb_co_u32_e32 v7, vcc, v7, v1, vcc
	global_store_dwordx2 v[2:3], v[6:7], off
.LBB21_496:
	s_andn2_b64 vcc, exec, s[8:9]
	s_cbranch_vccnz .LBB21_498
; %bb.497:
	v_cvt_i32_f32_e32 v1, v0
	global_store_dword v[2:3], v1, off
.LBB21_498:
	s_mov_b64 s[8:9], 0
.LBB21_499:
	s_andn2_b64 vcc, exec, s[8:9]
	s_cbranch_vccnz .LBB21_501
; %bb.500:
	v_cvt_i32_f32_e32 v1, v0
	global_store_short v[2:3], v1, off
.LBB21_501:
	s_mov_b64 s[8:9], 0
.LBB21_502:
	s_andn2_b64 vcc, exec, s[8:9]
	s_cbranch_vccnz .LBB21_507
; %bb.503:
	v_cmp_lt_i16_e32 vcc, 0, v4
	s_mov_b64 s[8:9], -1
	s_cbranch_vccz .LBB21_505
; %bb.504:
	v_cvt_i32_f32_e32 v1, v0
	s_mov_b64 s[8:9], 0
	global_store_byte v[2:3], v1, off
.LBB21_505:
	s_andn2_b64 vcc, exec, s[8:9]
	s_cbranch_vccnz .LBB21_507
; %bb.506:
	v_trunc_f32_e32 v0, v0
	s_mov_b32 s8, 0x2f800000
	v_mul_f32_e64 v1, |v0|, s8
	v_floor_f32_e32 v1, v1
	s_mov_b32 s8, 0xcf800000
	v_fma_f32 v1, v1, s8, |v0|
	v_cvt_u32_f32_e32 v1, v1
	v_ashrrev_i32_e32 v0, 31, v0
	v_xor_b32_e32 v1, v1, v0
	v_sub_u32_e32 v0, v1, v0
	global_store_byte v[2:3], v0, off
.LBB21_507:
	s_or_b64 exec, exec, s[6:7]
	s_and_b64 s[42:43], s[4:5], exec
                                        ; implicit-def: $vgpr29
                                        ; implicit-def: $vgpr23
                                        ; implicit-def: $vgpr25
                                        ; implicit-def: $vgpr27
.LBB21_508:
	s_or_saveexec_b64 s[40:41], s[40:41]
	s_mov_b64 s[4:5], 0
                                        ; implicit-def: $vgpr4
                                        ; implicit-def: $vgpr2_vgpr3
                                        ; implicit-def: $vgpr0
	s_xor_b64 exec, exec, s[40:41]
	s_cbranch_execz .LBB21_960
; %bb.509:
	v_mov_b32_e32 v0, s38
	v_mov_b32_e32 v1, s39
	;; [unrolled: 1-line block ×5, first 2 shown]
	v_add_u32_e32 v22, 0x80, v23
	v_add_u32_e32 v28, 0x100, v23
	s_getpc_b64 s[34:35]
	s_add_u32 s34, s34, _ZN2at6native6invokeIZZZNS0_12_GLOBAL__N_119airy_ai_kernel_cudaERNS_18TensorIteratorBaseEENKUlvE_clEvENKUlvE0_clEvEUlfE_i15function_traitsIS7_EEENT1_11result_typeERKT_PrKPcPKT0_PKN3c1010ScalarTypeEi@rel32@lo+4
	s_addc_u32 s35, s35, _ZN2at6native6invokeIZZZNS0_12_GLOBAL__N_119airy_ai_kernel_cudaERNS_18TensorIteratorBaseEENKUlvE_clEvENKUlvE0_clEvEUlfE_i15function_traitsIS7_EEENT1_11result_typeERKT_PrKPcPKT0_PKN3c1010ScalarTypeEi@rel32@hi+12
	s_swappc_b64 s[30:31], s[34:35]
	v_mov_b32_e32 v26, v0
	v_mov_b32_e32 v0, s38
	v_mov_b32_e32 v1, s39
	v_mov_b32_e32 v2, s29
	v_mov_b32_e32 v3, v25
	v_mov_b32_e32 v4, v22
	s_swappc_b64 s[30:31], s[34:35]
	v_mov_b32_e32 v24, v0
	v_mov_b32_e32 v0, s38
	v_mov_b32_e32 v1, s39
	v_mov_b32_e32 v2, s29
	v_mov_b32_e32 v3, v25
	v_mov_b32_e32 v4, v28
	;; [unrolled: 7-line block ×3, first 2 shown]
	s_swappc_b64 s[30:31], s[34:35]
	v_mul_lo_u32 v1, s28, v23
	v_ashrrev_i32_e32 v3, 31, v1
	v_mov_b32_e32 v4, s37
	v_add_co_u32_e32 v2, vcc, s36, v1
	v_addc_co_u32_e32 v3, vcc, v4, v3, vcc
	v_mov_b32_e32 v4, 11
	v_cmp_lt_i16_sdwa s[4:5], v29, v4 src0_sel:BYTE_0 src1_sel:DWORD
	s_and_b64 vcc, exec, s[4:5]
	s_cbranch_vccnz .LBB21_516
; %bb.510:
	v_mov_b32_e32 v4, 25
	v_cmp_gt_i16_sdwa s[4:5], v29, v4 src0_sel:BYTE_0 src1_sel:DWORD
	s_mov_b64 s[6:7], -1
	s_mov_b64 s[8:9], 0
	s_and_b64 vcc, exec, s[4:5]
	s_mov_b64 s[10:11], 0
	s_mov_b64 s[4:5], 0
	s_cbranch_vccz .LBB21_547
; %bb.511:
	v_mov_b32_e32 v4, 28
	v_cmp_gt_i16_sdwa s[4:5], v29, v4 src0_sel:BYTE_0 src1_sel:DWORD
	s_and_b64 vcc, exec, s[4:5]
	s_cbranch_vccz .LBB21_518
; %bb.512:
	v_mov_b32_e32 v4, 43
	v_cmp_gt_i16_sdwa s[4:5], v29, v4 src0_sel:BYTE_0 src1_sel:DWORD
	s_and_b64 vcc, exec, s[4:5]
	;; [unrolled: 5-line block ×3, first 2 shown]
	s_cbranch_vccz .LBB21_520
; %bb.514:
	v_mov_b32_e32 v4, 46
	v_cmp_eq_u16_sdwa s[10:11], v29, v4 src0_sel:BYTE_0 src1_sel:DWORD
	s_mov_b64 s[4:5], -1
	s_mov_b64 s[6:7], 0
	s_and_b64 vcc, exec, s[10:11]
	s_mov_b64 s[10:11], 0
	s_cbranch_vccz .LBB21_521
; %bb.515:
	v_bfe_u32 v4, v26, 16, 1
	s_movk_i32 s4, 0x7fff
	v_add3_u32 v4, v26, v4, s4
	v_lshrrev_b32_e32 v4, 16, v4
	v_mov_b32_e32 v5, 0x7fc0
	v_cmp_o_f32_e32 vcc, v26, v26
	v_cndmask_b32_e32 v4, v5, v4, vcc
	global_store_dword v[2:3], v4, off
	s_mov_b64 s[4:5], 0
	s_mov_b64 s[10:11], -1
	s_branch .LBB21_521
.LBB21_516:
	s_mov_b64 s[10:11], 0
	s_mov_b64 s[6:7], s[42:43]
	s_cbranch_execnz .LBB21_591
.LBB21_517:
	s_andn2_b64 vcc, exec, s[10:11]
	s_cbranch_vccz .LBB21_629
	s_branch .LBB21_958
.LBB21_518:
	s_mov_b64 s[4:5], 0
	s_branch .LBB21_530
.LBB21_519:
	s_mov_b64 s[4:5], 0
	s_and_b64 vcc, exec, s[6:7]
	s_cbranch_vccnz .LBB21_527
	s_branch .LBB21_529
.LBB21_520:
	s_mov_b64 s[4:5], 0
.LBB21_521:
	s_and_b64 vcc, exec, s[6:7]
	s_cbranch_vccz .LBB21_526
; %bb.522:
	v_mov_b32_e32 v4, 44
	v_cmp_eq_u16_sdwa s[6:7], v29, v4 src0_sel:BYTE_0 src1_sel:DWORD
	s_mov_b64 s[4:5], -1
	s_and_b64 vcc, exec, s[6:7]
	s_cbranch_vccz .LBB21_526
; %bb.523:
	v_bfe_u32 v4, v26, 23, 8
	s_movk_i32 s4, 0xff
	v_cmp_ne_u32_e32 vcc, s4, v4
	v_mov_b32_e32 v5, 0xff
	s_and_saveexec_b64 s[6:7], vcc
; %bb.524:
	s_mov_b32 s4, 0x3fffff
	v_and_b32_e32 v6, 0x400000, v26
	v_and_or_b32 v4, v26, s4, v4
	v_cmp_ne_u32_e32 vcc, 0, v6
	v_cmp_ne_u32_e64 s[4:5], 0, v4
	s_and_b64 s[4:5], vcc, s[4:5]
	v_lshrrev_b32_e32 v5, 23, v26
	v_cndmask_b32_e64 v4, 0, 1, s[4:5]
	v_add_u32_e32 v5, v5, v4
; %bb.525:
	s_or_b64 exec, exec, s[6:7]
	s_mov_b64 s[4:5], 0
	s_mov_b64 s[10:11], -1
	global_store_byte v[2:3], v5, off
.LBB21_526:
	s_branch .LBB21_529
.LBB21_527:
	v_mov_b32_e32 v4, 29
	v_cmp_eq_u16_sdwa s[6:7], v29, v4 src0_sel:BYTE_0 src1_sel:DWORD
	s_mov_b64 s[4:5], -1
	s_and_b64 vcc, exec, s[6:7]
	s_cbranch_vccz .LBB21_529
; %bb.528:
	v_trunc_f32_e32 v4, v26
	v_mul_f32_e32 v5, 0x2f800000, v4
	v_floor_f32_e32 v6, v5
	v_fmac_f32_e32 v4, 0xcf800000, v6
	v_cvt_u32_f32_e32 v5, v6
	v_cvt_u32_f32_e32 v4, v4
	s_mov_b64 s[4:5], 0
	s_mov_b64 s[10:11], -1
	s_mov_b64 s[6:7], 0
	global_store_dwordx2 v[2:3], v[4:5], off
	s_branch .LBB21_530
.LBB21_529:
	s_mov_b64 s[6:7], 0
.LBB21_530:
	s_and_b64 vcc, exec, s[6:7]
	s_cbranch_vccz .LBB21_546
; %bb.531:
	v_mov_b32_e32 v4, 27
	v_cmp_lt_i16_sdwa s[10:11], v29, v4 src0_sel:BYTE_0 src1_sel:DWORD
	s_mov_b64 s[6:7], -1
	s_and_b64 vcc, exec, s[10:11]
	s_cbranch_vccnz .LBB21_537
; %bb.532:
	v_cmp_gt_i16_sdwa s[10:11], v29, v4 src0_sel:BYTE_0 src1_sel:DWORD
	v_cvt_u32_f32_e32 v4, v26
	s_and_b64 vcc, exec, s[10:11]
	s_cbranch_vccz .LBB21_534
; %bb.533:
	s_mov_b64 s[6:7], 0
	global_store_dword v[2:3], v4, off
.LBB21_534:
	s_andn2_b64 vcc, exec, s[6:7]
	s_cbranch_vccnz .LBB21_536
; %bb.535:
	global_store_short v[2:3], v4, off
.LBB21_536:
	s_mov_b64 s[6:7], 0
.LBB21_537:
	s_andn2_b64 vcc, exec, s[6:7]
	s_cbranch_vccnz .LBB21_545
; %bb.538:
	v_and_b32_e32 v4, 0x7fffffff, v26
	s_mov_b32 s6, 0x43800000
	v_cmp_gt_u32_e32 vcc, s6, v4
	v_mov_b32_e32 v5, 0x80
	s_and_saveexec_b64 s[6:7], vcc
	s_cbranch_execz .LBB21_544
; %bb.539:
	s_mov_b32 s10, 0x3bffffff
	v_cmp_lt_u32_e32 vcc, s10, v4
	s_mov_b64 s[10:11], 0
                                        ; implicit-def: $vgpr4
	s_and_saveexec_b64 s[12:13], vcc
	s_xor_b64 s[12:13], exec, s[12:13]
	s_cbranch_execz .LBB21_639
; %bb.540:
	v_bfe_u32 v4, v26, 20, 1
	s_mov_b32 s14, 0x487ffff
	v_add3_u32 v4, v26, v4, s14
	s_mov_b64 s[10:11], exec
	v_lshrrev_b32_e32 v4, 20, v4
	s_or_saveexec_b64 s[12:13], s[12:13]
                                        ; implicit-def: $sgpr14
	s_xor_b64 exec, exec, s[12:13]
	s_cbranch_execnz .LBB21_640
.LBB21_541:
	s_or_b64 exec, exec, s[12:13]
	v_mov_b32_e32 v5, s14
	s_and_saveexec_b64 s[12:13], s[10:11]
.LBB21_542:
	v_lshrrev_b32_e32 v5, 24, v26
	s_movk_i32 s10, 0x80
	v_and_or_b32 v5, v5, s10, v4
.LBB21_543:
	s_or_b64 exec, exec, s[12:13]
.LBB21_544:
	s_or_b64 exec, exec, s[6:7]
	global_store_byte v[2:3], v5, off
.LBB21_545:
	s_mov_b64 s[10:11], -1
.LBB21_546:
	s_mov_b64 s[6:7], 0
.LBB21_547:
	s_and_b64 vcc, exec, s[6:7]
	s_cbranch_vccz .LBB21_587
; %bb.548:
	v_mov_b32_e32 v4, 22
	v_cmp_gt_i16_sdwa s[8:9], v29, v4 src0_sel:BYTE_0 src1_sel:DWORD
	s_mov_b64 s[6:7], -1
	s_and_b64 vcc, exec, s[8:9]
	s_cbranch_vccz .LBB21_580
; %bb.549:
	v_mov_b32_e32 v4, 24
	v_cmp_lt_i16_sdwa s[8:9], v29, v4 src0_sel:BYTE_0 src1_sel:DWORD
	s_and_b64 vcc, exec, s[8:9]
	s_cbranch_vccnz .LBB21_569
; %bb.550:
	v_cmp_gt_i16_sdwa s[8:9], v29, v4 src0_sel:BYTE_0 src1_sel:DWORD
	s_and_b64 vcc, exec, s[8:9]
	s_cbranch_vccz .LBB21_558
; %bb.551:
	v_and_b32_e32 v4, 0x7fffffff, v26
	s_mov_b32 s6, 0x47800000
	v_cmp_gt_u32_e32 vcc, s6, v4
	v_mov_b32_e32 v5, 0x80
	s_and_saveexec_b64 s[6:7], vcc
	s_cbranch_execz .LBB21_557
; %bb.552:
	s_mov_b32 s8, 0x37ffffff
	v_cmp_lt_u32_e32 vcc, s8, v4
	s_mov_b64 s[8:9], 0
                                        ; implicit-def: $vgpr4
	s_and_saveexec_b64 s[10:11], vcc
	s_xor_b64 s[10:11], exec, s[10:11]
	s_cbranch_execz .LBB21_643
; %bb.553:
	v_bfe_u32 v4, v26, 21, 1
	s_mov_b32 s12, 0x88fffff
	v_add3_u32 v4, v26, v4, s12
	s_mov_b64 s[8:9], exec
	v_lshrrev_b32_e32 v4, 21, v4
	s_or_saveexec_b64 s[10:11], s[10:11]
                                        ; implicit-def: $sgpr12
	s_xor_b64 exec, exec, s[10:11]
	s_cbranch_execnz .LBB21_644
.LBB21_554:
	s_or_b64 exec, exec, s[10:11]
	v_mov_b32_e32 v5, s12
	s_and_saveexec_b64 s[10:11], s[8:9]
.LBB21_555:
	v_lshrrev_b32_e32 v5, 24, v26
	s_movk_i32 s8, 0x80
	v_and_or_b32 v5, v5, s8, v4
.LBB21_556:
	s_or_b64 exec, exec, s[10:11]
.LBB21_557:
	s_or_b64 exec, exec, s[6:7]
	s_mov_b64 s[6:7], 0
	global_store_byte v[2:3], v5, off
.LBB21_558:
	s_and_b64 vcc, exec, s[6:7]
	s_cbranch_vccz .LBB21_568
; %bb.559:
	v_and_b32_e32 v5, 0x7fffffff, v26
	s_mov_b32 s6, 0x43f00000
	v_cmp_gt_u32_e32 vcc, s6, v5
                                        ; implicit-def: $vgpr4
	s_and_saveexec_b64 s[6:7], vcc
	s_xor_b64 s[6:7], exec, s[6:7]
	s_cbranch_execz .LBB21_565
; %bb.560:
	s_mov_b32 s8, 0x3c7fffff
	v_cmp_lt_u32_e32 vcc, s8, v5
                                        ; implicit-def: $vgpr4
	s_and_saveexec_b64 s[8:9], vcc
	s_xor_b64 s[8:9], exec, s[8:9]
; %bb.561:
	v_bfe_u32 v4, v26, 20, 1
	s_mov_b32 s10, 0x407ffff
	v_add3_u32 v4, v26, v4, s10
	v_lshrrev_b32_e32 v5, 20, v4
	v_and_b32_e32 v4, 0xff00000, v4
	s_mov_b32 s10, 0x7f00000
	v_mov_b32_e32 v6, 0x7e
	v_cmp_ne_u32_e32 vcc, s10, v4
	v_cndmask_b32_e32 v4, v6, v5, vcc
; %bb.562:
	s_andn2_saveexec_b64 s[8:9], s[8:9]
; %bb.563:
	s_mov_b32 s10, 0x46800000
	v_add_f32_e64 v4, |v26|, s10
; %bb.564:
	s_or_b64 exec, exec, s[8:9]
                                        ; implicit-def: $vgpr5
.LBB21_565:
	s_andn2_saveexec_b64 s[6:7], s[6:7]
; %bb.566:
	s_mov_b32 s8, 0x7f800000
	v_mov_b32_e32 v4, 0x7e
	v_mov_b32_e32 v6, 0x7f
	v_cmp_lt_u32_e32 vcc, s8, v5
	v_cndmask_b32_e32 v4, v4, v6, vcc
; %bb.567:
	s_or_b64 exec, exec, s[6:7]
	v_lshrrev_b32_e32 v5, 24, v26
	s_movk_i32 s6, 0x80
	v_and_or_b32 v4, v5, s6, v4
	global_store_byte v[2:3], v4, off
.LBB21_568:
	s_mov_b64 s[6:7], 0
.LBB21_569:
	s_andn2_b64 vcc, exec, s[6:7]
	s_cbranch_vccnz .LBB21_579
; %bb.570:
	v_and_b32_e32 v5, 0x7fffffff, v26
	s_mov_b32 s6, 0x47800000
	v_cmp_gt_u32_e32 vcc, s6, v5
                                        ; implicit-def: $vgpr4
	s_and_saveexec_b64 s[6:7], vcc
	s_xor_b64 s[6:7], exec, s[6:7]
	s_cbranch_execz .LBB21_576
; %bb.571:
	s_mov_b32 s8, 0x387fffff
	v_cmp_lt_u32_e32 vcc, s8, v5
                                        ; implicit-def: $vgpr4
	s_and_saveexec_b64 s[8:9], vcc
	s_xor_b64 s[8:9], exec, s[8:9]
; %bb.572:
	v_bfe_u32 v4, v26, 21, 1
	s_mov_b32 s10, 0x80fffff
	v_add3_u32 v4, v26, v4, s10
	v_lshrrev_b32_e32 v4, 21, v4
; %bb.573:
	s_andn2_saveexec_b64 s[8:9], s[8:9]
; %bb.574:
	s_mov_b32 s10, 0x43000000
	v_add_f32_e64 v4, |v26|, s10
; %bb.575:
	s_or_b64 exec, exec, s[8:9]
                                        ; implicit-def: $vgpr5
.LBB21_576:
	s_andn2_saveexec_b64 s[6:7], s[6:7]
; %bb.577:
	s_mov_b32 s8, 0x7f800000
	v_mov_b32_e32 v4, 0x7c
	v_mov_b32_e32 v6, 0x7f
	v_cmp_lt_u32_e32 vcc, s8, v5
	v_cndmask_b32_e32 v4, v4, v6, vcc
; %bb.578:
	s_or_b64 exec, exec, s[6:7]
	v_lshrrev_b32_e32 v5, 24, v26
	s_movk_i32 s6, 0x80
	v_and_or_b32 v4, v5, s6, v4
	global_store_byte v[2:3], v4, off
.LBB21_579:
	s_mov_b64 s[6:7], 0
	s_mov_b64 s[10:11], -1
.LBB21_580:
	s_andn2_b64 vcc, exec, s[6:7]
	s_mov_b64 s[8:9], 0
	s_cbranch_vccnz .LBB21_587
; %bb.581:
	v_mov_b32_e32 v4, 14
	v_cmp_gt_i16_sdwa s[8:9], v29, v4 src0_sel:BYTE_0 src1_sel:DWORD
	s_mov_b64 s[6:7], -1
	s_and_b64 vcc, exec, s[8:9]
	s_cbranch_vccz .LBB21_585
; %bb.582:
	v_mov_b32_e32 v4, 15
	v_cmp_eq_u16_sdwa s[6:7], v29, v4 src0_sel:BYTE_0 src1_sel:DWORD
	s_mov_b64 s[4:5], -1
	s_and_b64 vcc, exec, s[6:7]
	s_cbranch_vccz .LBB21_584
; %bb.583:
	v_bfe_u32 v4, v26, 16, 1
	s_movk_i32 s4, 0x7fff
	v_add3_u32 v4, v26, v4, s4
	v_lshrrev_b32_e32 v4, 16, v4
	v_mov_b32_e32 v5, 0x7fc0
	v_cmp_o_f32_e32 vcc, v26, v26
	v_cndmask_b32_e32 v4, v5, v4, vcc
	global_store_short v[2:3], v4, off
	s_mov_b64 s[4:5], 0
	s_mov_b64 s[10:11], -1
.LBB21_584:
	s_mov_b64 s[6:7], 0
.LBB21_585:
	s_mov_b64 s[8:9], 0
	s_and_b64 vcc, exec, s[6:7]
	s_cbranch_vccz .LBB21_587
; %bb.586:
	v_mov_b32_e32 v4, 11
	v_cmp_ne_u16_sdwa s[4:5], v29, v4 src0_sel:BYTE_0 src1_sel:DWORD
	s_mov_b64 s[8:9], -1
.LBB21_587:
	s_and_b64 vcc, exec, s[4:5]
	s_mov_b64 s[6:7], s[42:43]
	s_cbranch_vccnz .LBB21_642
; %bb.588:
	s_andn2_b64 vcc, exec, s[8:9]
	s_cbranch_vccnz .LBB21_590
.LBB21_589:
	v_cmp_neq_f32_e32 vcc, 0, v26
	v_cndmask_b32_e64 v4, 0, 1, vcc
	global_store_byte v[2:3], v4, off
	s_mov_b64 s[10:11], -1
.LBB21_590:
	s_branch .LBB21_517
.LBB21_591:
	v_mov_b32_e32 v4, 5
	v_cmp_lt_i16_sdwa s[8:9], v29, v4 src0_sel:BYTE_0 src1_sel:DWORD
	s_mov_b64 s[4:5], -1
	s_and_b64 vcc, exec, s[8:9]
	s_cbranch_vccnz .LBB21_612
; %bb.592:
	v_mov_b32_e32 v4, 8
	v_cmp_lt_i16_sdwa s[8:9], v29, v4 src0_sel:BYTE_0 src1_sel:DWORD
	s_and_b64 vcc, exec, s[8:9]
	s_cbranch_vccnz .LBB21_602
; %bb.593:
	v_mov_b32_e32 v4, 9
	v_cmp_lt_i16_sdwa s[8:9], v29, v4 src0_sel:BYTE_0 src1_sel:DWORD
	s_and_b64 vcc, exec, s[8:9]
	s_cbranch_vccnz .LBB21_599
; %bb.594:
	v_cmp_gt_i16_sdwa s[8:9], v29, v4 src0_sel:BYTE_0 src1_sel:DWORD
	s_and_b64 vcc, exec, s[8:9]
	s_cbranch_vccz .LBB21_596
; %bb.595:
	v_mov_b32_e32 v6, 0
	v_cvt_f64_f32_e32 v[4:5], v26
	v_mov_b32_e32 v7, v6
	global_store_dwordx4 v[2:3], v[4:7], off
	s_mov_b64 s[4:5], 0
.LBB21_596:
	s_andn2_b64 vcc, exec, s[4:5]
	s_cbranch_vccnz .LBB21_598
; %bb.597:
	v_mov_b32_e32 v27, 0
	global_store_dwordx2 v[2:3], v[26:27], off
.LBB21_598:
	s_mov_b64 s[4:5], 0
.LBB21_599:
	s_andn2_b64 vcc, exec, s[4:5]
	s_cbranch_vccnz .LBB21_601
; %bb.600:
	v_cvt_f16_f32_e32 v4, v26
	global_store_dword v[2:3], v4, off
.LBB21_601:
	s_mov_b64 s[4:5], 0
.LBB21_602:
	s_andn2_b64 vcc, exec, s[4:5]
	s_cbranch_vccnz .LBB21_611
; %bb.603:
	v_mov_b32_e32 v4, 6
	v_cmp_lt_i16_sdwa s[8:9], v29, v4 src0_sel:BYTE_0 src1_sel:DWORD
	s_mov_b64 s[4:5], -1
	s_and_b64 vcc, exec, s[8:9]
	s_cbranch_vccnz .LBB21_609
; %bb.604:
	v_cmp_gt_i16_sdwa s[8:9], v29, v4 src0_sel:BYTE_0 src1_sel:DWORD
	s_and_b64 vcc, exec, s[8:9]
	s_cbranch_vccz .LBB21_606
; %bb.605:
	v_cvt_f64_f32_e32 v[4:5], v26
	global_store_dwordx2 v[2:3], v[4:5], off
	s_mov_b64 s[4:5], 0
.LBB21_606:
	s_andn2_b64 vcc, exec, s[4:5]
	s_cbranch_vccnz .LBB21_608
; %bb.607:
	global_store_dword v[2:3], v26, off
.LBB21_608:
	s_mov_b64 s[4:5], 0
.LBB21_609:
	s_andn2_b64 vcc, exec, s[4:5]
	s_cbranch_vccnz .LBB21_611
; %bb.610:
	v_cvt_f16_f32_e32 v4, v26
	global_store_short v[2:3], v4, off
.LBB21_611:
	s_mov_b64 s[4:5], 0
.LBB21_612:
	s_andn2_b64 vcc, exec, s[4:5]
	s_cbranch_vccnz .LBB21_628
; %bb.613:
	v_mov_b32_e32 v4, 2
	v_cmp_lt_i16_sdwa s[8:9], v29, v4 src0_sel:BYTE_0 src1_sel:DWORD
	s_mov_b64 s[4:5], -1
	s_and_b64 vcc, exec, s[8:9]
	s_cbranch_vccnz .LBB21_623
; %bb.614:
	v_mov_b32_e32 v4, 3
	v_cmp_lt_i16_sdwa s[8:9], v29, v4 src0_sel:BYTE_0 src1_sel:DWORD
	s_and_b64 vcc, exec, s[8:9]
	s_cbranch_vccnz .LBB21_620
; %bb.615:
	v_cmp_gt_i16_sdwa s[8:9], v29, v4 src0_sel:BYTE_0 src1_sel:DWORD
	s_and_b64 vcc, exec, s[8:9]
	s_cbranch_vccz .LBB21_617
; %bb.616:
	v_trunc_f32_e32 v4, v26
	s_mov_b32 s4, 0x2f800000
	v_mul_f32_e64 v5, |v4|, s4
	v_floor_f32_e32 v5, v5
	s_mov_b32 s4, 0xcf800000
	v_cvt_u32_f32_e32 v6, v5
	v_fma_f32 v5, v5, s4, |v4|
	v_cvt_u32_f32_e32 v5, v5
	v_ashrrev_i32_e32 v7, 31, v4
	v_xor_b32_e32 v6, v6, v7
	s_mov_b64 s[4:5], 0
	v_xor_b32_e32 v4, v5, v7
	v_sub_co_u32_e32 v4, vcc, v4, v7
	v_subb_co_u32_e32 v5, vcc, v6, v7, vcc
	global_store_dwordx2 v[2:3], v[4:5], off
.LBB21_617:
	s_andn2_b64 vcc, exec, s[4:5]
	s_cbranch_vccnz .LBB21_619
; %bb.618:
	v_cvt_i32_f32_e32 v4, v26
	global_store_dword v[2:3], v4, off
.LBB21_619:
	s_mov_b64 s[4:5], 0
.LBB21_620:
	s_andn2_b64 vcc, exec, s[4:5]
	s_cbranch_vccnz .LBB21_622
; %bb.621:
	v_cvt_i32_f32_e32 v4, v26
	global_store_short v[2:3], v4, off
.LBB21_622:
	s_mov_b64 s[4:5], 0
.LBB21_623:
	s_andn2_b64 vcc, exec, s[4:5]
	s_cbranch_vccnz .LBB21_628
; %bb.624:
	v_mov_b32_e32 v4, 0
	v_cmp_gt_i16_sdwa s[8:9], v29, v4 src0_sel:BYTE_0 src1_sel:DWORD
	s_mov_b64 s[4:5], -1
	s_and_b64 vcc, exec, s[8:9]
	s_cbranch_vccz .LBB21_626
; %bb.625:
	v_cvt_i32_f32_e32 v4, v26
	s_mov_b64 s[4:5], 0
	global_store_byte v[2:3], v4, off
.LBB21_626:
	s_andn2_b64 vcc, exec, s[4:5]
	s_cbranch_vccnz .LBB21_628
; %bb.627:
	v_trunc_f32_e32 v4, v26
	s_mov_b32 s4, 0x2f800000
	v_mul_f32_e64 v5, |v4|, s4
	v_floor_f32_e32 v5, v5
	s_mov_b32 s4, 0xcf800000
	v_fma_f32 v5, v5, s4, |v4|
	v_cvt_u32_f32_e32 v5, v5
	v_ashrrev_i32_e32 v4, 31, v4
	v_xor_b32_e32 v5, v5, v4
	v_sub_u32_e32 v4, v5, v4
	global_store_byte v[2:3], v4, off
.LBB21_628:
.LBB21_629:
	s_lshl_b32 s16, s28, 7
	v_add_u32_e32 v1, s16, v1
	v_ashrrev_i32_e32 v3, 31, v1
	v_mov_b32_e32 v4, s37
	v_add_co_u32_e32 v2, vcc, s36, v1
	v_addc_co_u32_e32 v3, vcc, v4, v3, vcc
	v_mov_b32_e32 v4, 11
	v_cmp_lt_i16_sdwa s[4:5], v29, v4 src0_sel:BYTE_0 src1_sel:DWORD
	s_and_b64 vcc, exec, s[4:5]
	s_cbranch_vccnz .LBB21_636
; %bb.630:
	v_mov_b32_e32 v4, 25
	v_cmp_gt_i16_sdwa s[4:5], v29, v4 src0_sel:BYTE_0 src1_sel:DWORD
	s_mov_b64 s[12:13], -1
	s_mov_b64 s[8:9], 0
	s_and_b64 vcc, exec, s[4:5]
	s_mov_b64 s[10:11], 0
	s_mov_b64 s[4:5], 0
	s_cbranch_vccz .LBB21_673
; %bb.631:
	v_mov_b32_e32 v4, 28
	v_cmp_gt_i16_sdwa s[4:5], v29, v4 src0_sel:BYTE_0 src1_sel:DWORD
	s_and_b64 vcc, exec, s[4:5]
	s_cbranch_vccz .LBB21_638
; %bb.632:
	v_mov_b32_e32 v4, 43
	v_cmp_gt_i16_sdwa s[4:5], v29, v4 src0_sel:BYTE_0 src1_sel:DWORD
	s_and_b64 vcc, exec, s[4:5]
	;; [unrolled: 5-line block ×3, first 2 shown]
	s_cbranch_vccz .LBB21_645
; %bb.634:
	v_mov_b32_e32 v4, 46
	v_cmp_eq_u16_sdwa s[10:11], v29, v4 src0_sel:BYTE_0 src1_sel:DWORD
	s_mov_b64 s[4:5], -1
	s_mov_b64 s[12:13], 0
	s_and_b64 vcc, exec, s[10:11]
	s_mov_b64 s[10:11], 0
	s_cbranch_vccz .LBB21_646
; %bb.635:
	v_bfe_u32 v4, v24, 16, 1
	s_movk_i32 s4, 0x7fff
	v_add3_u32 v4, v24, v4, s4
	v_lshrrev_b32_e32 v4, 16, v4
	v_mov_b32_e32 v5, 0x7fc0
	v_cmp_o_f32_e32 vcc, v24, v24
	v_cndmask_b32_e32 v4, v5, v4, vcc
	global_store_dword v[2:3], v4, off
	s_mov_b64 s[4:5], 0
	s_mov_b64 s[10:11], -1
	s_branch .LBB21_646
.LBB21_636:
	s_mov_b64 s[10:11], 0
	s_cbranch_execnz .LBB21_717
.LBB21_637:
	s_andn2_b64 vcc, exec, s[10:11]
	s_cbranch_vccz .LBB21_755
	s_branch .LBB21_958
.LBB21_638:
	s_mov_b64 s[4:5], 0
	s_branch .LBB21_656
.LBB21_639:
	s_or_saveexec_b64 s[12:13], s[12:13]
                                        ; implicit-def: $sgpr14
	s_xor_b64 exec, exec, s[12:13]
	s_cbranch_execz .LBB21_541
.LBB21_640:
	s_mov_b32 s14, 0x46000000
	v_add_f32_e64 v4, |v26|, s14
	v_and_b32_e32 v4, 0xff, v4
	v_cmp_ne_u32_e32 vcc, 0, v4
	s_andn2_b64 s[10:11], s[10:11], exec
	s_and_b64 s[16:17], vcc, exec
	s_mov_b32 s14, 0
	s_or_b64 s[10:11], s[10:11], s[16:17]
	s_or_b64 exec, exec, s[12:13]
	v_mov_b32_e32 v5, s14
	s_and_saveexec_b64 s[12:13], s[10:11]
	s_cbranch_execnz .LBB21_542
	s_branch .LBB21_543
.LBB21_641:
	s_mov_b64 s[4:5], 0
	s_branch .LBB21_652
.LBB21_642:
	s_or_b64 s[6:7], s[42:43], exec
	s_trap 2
	s_cbranch_execz .LBB21_589
	s_branch .LBB21_590
.LBB21_643:
	s_or_saveexec_b64 s[10:11], s[10:11]
                                        ; implicit-def: $sgpr12
	s_xor_b64 exec, exec, s[10:11]
	s_cbranch_execz .LBB21_554
.LBB21_644:
	s_mov_b32 s12, 0x42800000
	v_add_f32_e64 v4, |v26|, s12
	v_and_b32_e32 v4, 0xff, v4
	v_cmp_ne_u32_e32 vcc, 0, v4
	s_andn2_b64 s[8:9], s[8:9], exec
	s_and_b64 s[14:15], vcc, exec
	s_mov_b32 s12, 0
	s_or_b64 s[8:9], s[8:9], s[14:15]
	s_or_b64 exec, exec, s[10:11]
	v_mov_b32_e32 v5, s12
	s_and_saveexec_b64 s[10:11], s[8:9]
	s_cbranch_execnz .LBB21_555
	s_branch .LBB21_556
.LBB21_645:
	s_mov_b64 s[4:5], 0
.LBB21_646:
	s_and_b64 vcc, exec, s[12:13]
	s_cbranch_vccz .LBB21_651
; %bb.647:
	v_mov_b32_e32 v4, 44
	v_cmp_eq_u16_sdwa s[12:13], v29, v4 src0_sel:BYTE_0 src1_sel:DWORD
	s_mov_b64 s[4:5], -1
	s_and_b64 vcc, exec, s[12:13]
	s_cbranch_vccz .LBB21_651
; %bb.648:
	v_bfe_u32 v4, v24, 23, 8
	s_movk_i32 s4, 0xff
	v_cmp_ne_u32_e32 vcc, s4, v4
	v_mov_b32_e32 v5, 0xff
	s_and_saveexec_b64 s[10:11], vcc
; %bb.649:
	s_mov_b32 s4, 0x3fffff
	v_and_b32_e32 v6, 0x400000, v24
	v_and_or_b32 v4, v24, s4, v4
	v_cmp_ne_u32_e32 vcc, 0, v6
	v_cmp_ne_u32_e64 s[4:5], 0, v4
	s_and_b64 s[4:5], vcc, s[4:5]
	v_lshrrev_b32_e32 v5, 23, v24
	v_cndmask_b32_e64 v4, 0, 1, s[4:5]
	v_add_u32_e32 v5, v5, v4
; %bb.650:
	s_or_b64 exec, exec, s[10:11]
	s_mov_b64 s[4:5], 0
	s_mov_b64 s[10:11], -1
	global_store_byte v[2:3], v5, off
.LBB21_651:
	s_mov_b64 s[12:13], 0
.LBB21_652:
	s_and_b64 vcc, exec, s[12:13]
	s_cbranch_vccz .LBB21_655
; %bb.653:
	v_mov_b32_e32 v4, 29
	v_cmp_eq_u16_sdwa s[12:13], v29, v4 src0_sel:BYTE_0 src1_sel:DWORD
	s_mov_b64 s[4:5], -1
	s_and_b64 vcc, exec, s[12:13]
	s_cbranch_vccz .LBB21_655
; %bb.654:
	v_trunc_f32_e32 v4, v24
	v_mul_f32_e32 v5, 0x2f800000, v4
	v_floor_f32_e32 v6, v5
	v_fmac_f32_e32 v4, 0xcf800000, v6
	v_cvt_u32_f32_e32 v5, v6
	v_cvt_u32_f32_e32 v4, v4
	s_mov_b64 s[4:5], 0
	s_mov_b64 s[10:11], -1
	s_mov_b64 s[12:13], 0
	global_store_dwordx2 v[2:3], v[4:5], off
	s_branch .LBB21_656
.LBB21_655:
	s_mov_b64 s[12:13], 0
.LBB21_656:
	s_and_b64 vcc, exec, s[12:13]
	s_cbranch_vccz .LBB21_672
; %bb.657:
	v_mov_b32_e32 v4, 27
	v_cmp_lt_i16_sdwa s[12:13], v29, v4 src0_sel:BYTE_0 src1_sel:DWORD
	s_mov_b64 s[10:11], -1
	s_and_b64 vcc, exec, s[12:13]
	s_cbranch_vccnz .LBB21_663
; %bb.658:
	v_cmp_gt_i16_sdwa s[12:13], v29, v4 src0_sel:BYTE_0 src1_sel:DWORD
	v_cvt_u32_f32_e32 v4, v24
	s_and_b64 vcc, exec, s[12:13]
	s_cbranch_vccz .LBB21_660
; %bb.659:
	s_mov_b64 s[10:11], 0
	global_store_dword v[2:3], v4, off
.LBB21_660:
	s_andn2_b64 vcc, exec, s[10:11]
	s_cbranch_vccnz .LBB21_662
; %bb.661:
	global_store_short v[2:3], v4, off
.LBB21_662:
	s_mov_b64 s[10:11], 0
.LBB21_663:
	s_andn2_b64 vcc, exec, s[10:11]
	s_cbranch_vccnz .LBB21_671
; %bb.664:
	v_and_b32_e32 v4, 0x7fffffff, v24
	s_mov_b32 s10, 0x43800000
	v_cmp_gt_u32_e32 vcc, s10, v4
	v_mov_b32_e32 v5, 0x80
	s_and_saveexec_b64 s[10:11], vcc
	s_cbranch_execz .LBB21_670
; %bb.665:
	s_mov_b32 s12, 0x3bffffff
	v_cmp_lt_u32_e32 vcc, s12, v4
	s_mov_b64 s[12:13], 0
                                        ; implicit-def: $vgpr4
	s_and_saveexec_b64 s[14:15], vcc
	s_xor_b64 s[14:15], exec, s[14:15]
	s_cbranch_execz .LBB21_842
; %bb.666:
	v_bfe_u32 v4, v24, 20, 1
	s_mov_b32 s17, 0x487ffff
	v_add3_u32 v4, v24, v4, s17
	s_mov_b64 s[12:13], exec
	v_lshrrev_b32_e32 v4, 20, v4
	s_or_saveexec_b64 s[14:15], s[14:15]
                                        ; implicit-def: $sgpr17
	s_xor_b64 exec, exec, s[14:15]
	s_cbranch_execnz .LBB21_843
.LBB21_667:
	s_or_b64 exec, exec, s[14:15]
	v_mov_b32_e32 v5, s17
	s_and_saveexec_b64 s[14:15], s[12:13]
.LBB21_668:
	v_lshrrev_b32_e32 v5, 24, v24
	s_movk_i32 s12, 0x80
	v_and_or_b32 v5, v5, s12, v4
.LBB21_669:
	s_or_b64 exec, exec, s[14:15]
.LBB21_670:
	s_or_b64 exec, exec, s[10:11]
	global_store_byte v[2:3], v5, off
.LBB21_671:
	s_mov_b64 s[10:11], -1
.LBB21_672:
	s_mov_b64 s[12:13], 0
.LBB21_673:
	s_and_b64 vcc, exec, s[12:13]
	s_cbranch_vccz .LBB21_713
; %bb.674:
	v_mov_b32_e32 v4, 22
	v_cmp_gt_i16_sdwa s[12:13], v29, v4 src0_sel:BYTE_0 src1_sel:DWORD
	s_mov_b64 s[8:9], -1
	s_and_b64 vcc, exec, s[12:13]
	s_cbranch_vccz .LBB21_706
; %bb.675:
	v_mov_b32_e32 v4, 24
	v_cmp_lt_i16_sdwa s[10:11], v29, v4 src0_sel:BYTE_0 src1_sel:DWORD
	s_and_b64 vcc, exec, s[10:11]
	s_cbranch_vccnz .LBB21_695
; %bb.676:
	v_cmp_gt_i16_sdwa s[10:11], v29, v4 src0_sel:BYTE_0 src1_sel:DWORD
	s_and_b64 vcc, exec, s[10:11]
	s_cbranch_vccz .LBB21_684
; %bb.677:
	v_and_b32_e32 v4, 0x7fffffff, v24
	s_mov_b32 s8, 0x47800000
	v_cmp_gt_u32_e32 vcc, s8, v4
	v_mov_b32_e32 v5, 0x80
	s_and_saveexec_b64 s[8:9], vcc
	s_cbranch_execz .LBB21_683
; %bb.678:
	s_mov_b32 s10, 0x37ffffff
	v_cmp_lt_u32_e32 vcc, s10, v4
	s_mov_b64 s[10:11], 0
                                        ; implicit-def: $vgpr4
	s_and_saveexec_b64 s[12:13], vcc
	s_xor_b64 s[12:13], exec, s[12:13]
	s_cbranch_execz .LBB21_846
; %bb.679:
	v_bfe_u32 v4, v24, 21, 1
	s_mov_b32 s14, 0x88fffff
	v_add3_u32 v4, v24, v4, s14
	s_mov_b64 s[10:11], exec
	v_lshrrev_b32_e32 v4, 21, v4
	s_or_saveexec_b64 s[12:13], s[12:13]
                                        ; implicit-def: $sgpr14
	s_xor_b64 exec, exec, s[12:13]
	s_cbranch_execnz .LBB21_847
.LBB21_680:
	s_or_b64 exec, exec, s[12:13]
	v_mov_b32_e32 v5, s14
	s_and_saveexec_b64 s[12:13], s[10:11]
.LBB21_681:
	v_lshrrev_b32_e32 v5, 24, v24
	s_movk_i32 s10, 0x80
	v_and_or_b32 v5, v5, s10, v4
.LBB21_682:
	s_or_b64 exec, exec, s[12:13]
.LBB21_683:
	s_or_b64 exec, exec, s[8:9]
	s_mov_b64 s[8:9], 0
	global_store_byte v[2:3], v5, off
.LBB21_684:
	s_and_b64 vcc, exec, s[8:9]
	s_cbranch_vccz .LBB21_694
; %bb.685:
	v_and_b32_e32 v5, 0x7fffffff, v24
	s_mov_b32 s8, 0x43f00000
	v_cmp_gt_u32_e32 vcc, s8, v5
                                        ; implicit-def: $vgpr4
	s_and_saveexec_b64 s[8:9], vcc
	s_xor_b64 s[8:9], exec, s[8:9]
	s_cbranch_execz .LBB21_691
; %bb.686:
	s_mov_b32 s10, 0x3c7fffff
	v_cmp_lt_u32_e32 vcc, s10, v5
                                        ; implicit-def: $vgpr4
	s_and_saveexec_b64 s[10:11], vcc
	s_xor_b64 s[10:11], exec, s[10:11]
; %bb.687:
	v_bfe_u32 v4, v24, 20, 1
	s_mov_b32 s12, 0x407ffff
	v_add3_u32 v4, v24, v4, s12
	v_lshrrev_b32_e32 v5, 20, v4
	v_and_b32_e32 v4, 0xff00000, v4
	s_mov_b32 s12, 0x7f00000
	v_mov_b32_e32 v6, 0x7e
	v_cmp_ne_u32_e32 vcc, s12, v4
	v_cndmask_b32_e32 v4, v6, v5, vcc
; %bb.688:
	s_andn2_saveexec_b64 s[10:11], s[10:11]
; %bb.689:
	s_mov_b32 s12, 0x46800000
	v_add_f32_e64 v4, |v24|, s12
; %bb.690:
	s_or_b64 exec, exec, s[10:11]
                                        ; implicit-def: $vgpr5
.LBB21_691:
	s_andn2_saveexec_b64 s[8:9], s[8:9]
; %bb.692:
	s_mov_b32 s10, 0x7f800000
	v_mov_b32_e32 v4, 0x7e
	v_mov_b32_e32 v6, 0x7f
	v_cmp_lt_u32_e32 vcc, s10, v5
	v_cndmask_b32_e32 v4, v4, v6, vcc
; %bb.693:
	s_or_b64 exec, exec, s[8:9]
	v_lshrrev_b32_e32 v5, 24, v24
	s_movk_i32 s8, 0x80
	v_and_or_b32 v4, v5, s8, v4
	global_store_byte v[2:3], v4, off
.LBB21_694:
	s_mov_b64 s[8:9], 0
.LBB21_695:
	s_andn2_b64 vcc, exec, s[8:9]
	s_cbranch_vccnz .LBB21_705
; %bb.696:
	v_and_b32_e32 v5, 0x7fffffff, v24
	s_mov_b32 s8, 0x47800000
	v_cmp_gt_u32_e32 vcc, s8, v5
                                        ; implicit-def: $vgpr4
	s_and_saveexec_b64 s[8:9], vcc
	s_xor_b64 s[8:9], exec, s[8:9]
	s_cbranch_execz .LBB21_702
; %bb.697:
	s_mov_b32 s10, 0x387fffff
	v_cmp_lt_u32_e32 vcc, s10, v5
                                        ; implicit-def: $vgpr4
	s_and_saveexec_b64 s[10:11], vcc
	s_xor_b64 s[10:11], exec, s[10:11]
; %bb.698:
	v_bfe_u32 v4, v24, 21, 1
	s_mov_b32 s12, 0x80fffff
	v_add3_u32 v4, v24, v4, s12
	v_lshrrev_b32_e32 v4, 21, v4
; %bb.699:
	s_andn2_saveexec_b64 s[10:11], s[10:11]
; %bb.700:
	s_mov_b32 s12, 0x43000000
	v_add_f32_e64 v4, |v24|, s12
; %bb.701:
	s_or_b64 exec, exec, s[10:11]
                                        ; implicit-def: $vgpr5
.LBB21_702:
	s_andn2_saveexec_b64 s[8:9], s[8:9]
; %bb.703:
	s_mov_b32 s10, 0x7f800000
	v_mov_b32_e32 v4, 0x7c
	v_mov_b32_e32 v6, 0x7f
	v_cmp_lt_u32_e32 vcc, s10, v5
	v_cndmask_b32_e32 v4, v4, v6, vcc
; %bb.704:
	s_or_b64 exec, exec, s[8:9]
	v_lshrrev_b32_e32 v5, 24, v24
	s_movk_i32 s8, 0x80
	v_and_or_b32 v4, v5, s8, v4
	global_store_byte v[2:3], v4, off
.LBB21_705:
	s_mov_b64 s[8:9], 0
	s_mov_b64 s[10:11], -1
.LBB21_706:
	s_andn2_b64 vcc, exec, s[8:9]
	s_mov_b64 s[8:9], 0
	s_cbranch_vccnz .LBB21_713
; %bb.707:
	v_mov_b32_e32 v4, 14
	v_cmp_gt_i16_sdwa s[8:9], v29, v4 src0_sel:BYTE_0 src1_sel:DWORD
	s_mov_b64 s[12:13], -1
	s_and_b64 vcc, exec, s[8:9]
	s_cbranch_vccz .LBB21_711
; %bb.708:
	v_mov_b32_e32 v4, 15
	v_cmp_eq_u16_sdwa s[8:9], v29, v4 src0_sel:BYTE_0 src1_sel:DWORD
	s_mov_b64 s[4:5], -1
	s_and_b64 vcc, exec, s[8:9]
	s_cbranch_vccz .LBB21_710
; %bb.709:
	v_bfe_u32 v4, v24, 16, 1
	s_movk_i32 s4, 0x7fff
	v_add3_u32 v4, v24, v4, s4
	v_lshrrev_b32_e32 v4, 16, v4
	v_mov_b32_e32 v5, 0x7fc0
	v_cmp_o_f32_e32 vcc, v24, v24
	v_cndmask_b32_e32 v4, v5, v4, vcc
	global_store_short v[2:3], v4, off
	s_mov_b64 s[4:5], 0
	s_mov_b64 s[10:11], -1
.LBB21_710:
	s_mov_b64 s[12:13], 0
.LBB21_711:
	s_mov_b64 s[8:9], 0
	s_and_b64 vcc, exec, s[12:13]
	s_cbranch_vccz .LBB21_713
; %bb.712:
	v_mov_b32_e32 v4, 11
	v_cmp_ne_u16_sdwa s[4:5], v29, v4 src0_sel:BYTE_0 src1_sel:DWORD
	s_mov_b64 s[8:9], -1
.LBB21_713:
	s_and_b64 vcc, exec, s[4:5]
	s_cbranch_vccnz .LBB21_845
; %bb.714:
	s_andn2_b64 vcc, exec, s[8:9]
	s_cbranch_vccnz .LBB21_716
.LBB21_715:
	v_cmp_neq_f32_e32 vcc, 0, v24
	v_cndmask_b32_e64 v4, 0, 1, vcc
	s_mov_b64 s[10:11], -1
	global_store_byte v[2:3], v4, off
.LBB21_716:
	s_branch .LBB21_637
.LBB21_717:
	v_mov_b32_e32 v4, 5
	v_cmp_lt_i16_sdwa s[8:9], v29, v4 src0_sel:BYTE_0 src1_sel:DWORD
	s_mov_b64 s[4:5], -1
	s_and_b64 vcc, exec, s[8:9]
	s_cbranch_vccnz .LBB21_738
; %bb.718:
	v_mov_b32_e32 v4, 8
	v_cmp_lt_i16_sdwa s[8:9], v29, v4 src0_sel:BYTE_0 src1_sel:DWORD
	s_and_b64 vcc, exec, s[8:9]
	s_cbranch_vccnz .LBB21_728
; %bb.719:
	v_mov_b32_e32 v4, 9
	v_cmp_lt_i16_sdwa s[8:9], v29, v4 src0_sel:BYTE_0 src1_sel:DWORD
	s_and_b64 vcc, exec, s[8:9]
	s_cbranch_vccnz .LBB21_725
; %bb.720:
	v_cmp_gt_i16_sdwa s[8:9], v29, v4 src0_sel:BYTE_0 src1_sel:DWORD
	s_and_b64 vcc, exec, s[8:9]
	s_cbranch_vccz .LBB21_722
; %bb.721:
	v_mov_b32_e32 v6, 0
	v_cvt_f64_f32_e32 v[4:5], v24
	v_mov_b32_e32 v7, v6
	global_store_dwordx4 v[2:3], v[4:7], off
	s_mov_b64 s[4:5], 0
.LBB21_722:
	s_andn2_b64 vcc, exec, s[4:5]
	s_cbranch_vccnz .LBB21_724
; %bb.723:
	v_mov_b32_e32 v25, 0
	global_store_dwordx2 v[2:3], v[24:25], off
.LBB21_724:
	s_mov_b64 s[4:5], 0
.LBB21_725:
	s_andn2_b64 vcc, exec, s[4:5]
	s_cbranch_vccnz .LBB21_727
; %bb.726:
	v_cvt_f16_f32_e32 v4, v24
	global_store_dword v[2:3], v4, off
.LBB21_727:
	s_mov_b64 s[4:5], 0
.LBB21_728:
	s_andn2_b64 vcc, exec, s[4:5]
	s_cbranch_vccnz .LBB21_737
; %bb.729:
	v_mov_b32_e32 v4, 6
	v_cmp_lt_i16_sdwa s[8:9], v29, v4 src0_sel:BYTE_0 src1_sel:DWORD
	s_mov_b64 s[4:5], -1
	s_and_b64 vcc, exec, s[8:9]
	s_cbranch_vccnz .LBB21_735
; %bb.730:
	v_cmp_gt_i16_sdwa s[8:9], v29, v4 src0_sel:BYTE_0 src1_sel:DWORD
	s_and_b64 vcc, exec, s[8:9]
	s_cbranch_vccz .LBB21_732
; %bb.731:
	v_cvt_f64_f32_e32 v[4:5], v24
	global_store_dwordx2 v[2:3], v[4:5], off
	s_mov_b64 s[4:5], 0
.LBB21_732:
	s_andn2_b64 vcc, exec, s[4:5]
	s_cbranch_vccnz .LBB21_734
; %bb.733:
	global_store_dword v[2:3], v24, off
.LBB21_734:
	s_mov_b64 s[4:5], 0
.LBB21_735:
	s_andn2_b64 vcc, exec, s[4:5]
	s_cbranch_vccnz .LBB21_737
; %bb.736:
	v_cvt_f16_f32_e32 v4, v24
	global_store_short v[2:3], v4, off
.LBB21_737:
	s_mov_b64 s[4:5], 0
.LBB21_738:
	s_andn2_b64 vcc, exec, s[4:5]
	s_cbranch_vccnz .LBB21_754
; %bb.739:
	v_mov_b32_e32 v4, 2
	v_cmp_lt_i16_sdwa s[8:9], v29, v4 src0_sel:BYTE_0 src1_sel:DWORD
	s_mov_b64 s[4:5], -1
	s_and_b64 vcc, exec, s[8:9]
	s_cbranch_vccnz .LBB21_749
; %bb.740:
	v_mov_b32_e32 v4, 3
	v_cmp_lt_i16_sdwa s[8:9], v29, v4 src0_sel:BYTE_0 src1_sel:DWORD
	s_and_b64 vcc, exec, s[8:9]
	s_cbranch_vccnz .LBB21_746
; %bb.741:
	v_cmp_gt_i16_sdwa s[8:9], v29, v4 src0_sel:BYTE_0 src1_sel:DWORD
	s_and_b64 vcc, exec, s[8:9]
	s_cbranch_vccz .LBB21_743
; %bb.742:
	v_trunc_f32_e32 v4, v24
	s_mov_b32 s4, 0x2f800000
	v_mul_f32_e64 v5, |v4|, s4
	v_floor_f32_e32 v5, v5
	s_mov_b32 s4, 0xcf800000
	v_cvt_u32_f32_e32 v6, v5
	v_fma_f32 v5, v5, s4, |v4|
	v_cvt_u32_f32_e32 v5, v5
	v_ashrrev_i32_e32 v7, 31, v4
	v_xor_b32_e32 v6, v6, v7
	s_mov_b64 s[4:5], 0
	v_xor_b32_e32 v4, v5, v7
	v_sub_co_u32_e32 v4, vcc, v4, v7
	v_subb_co_u32_e32 v5, vcc, v6, v7, vcc
	global_store_dwordx2 v[2:3], v[4:5], off
.LBB21_743:
	s_andn2_b64 vcc, exec, s[4:5]
	s_cbranch_vccnz .LBB21_745
; %bb.744:
	v_cvt_i32_f32_e32 v4, v24
	global_store_dword v[2:3], v4, off
.LBB21_745:
	s_mov_b64 s[4:5], 0
.LBB21_746:
	s_andn2_b64 vcc, exec, s[4:5]
	s_cbranch_vccnz .LBB21_748
; %bb.747:
	v_cvt_i32_f32_e32 v4, v24
	global_store_short v[2:3], v4, off
.LBB21_748:
	s_mov_b64 s[4:5], 0
.LBB21_749:
	s_andn2_b64 vcc, exec, s[4:5]
	s_cbranch_vccnz .LBB21_754
; %bb.750:
	v_mov_b32_e32 v4, 0
	v_cmp_gt_i16_sdwa s[8:9], v29, v4 src0_sel:BYTE_0 src1_sel:DWORD
	s_mov_b64 s[4:5], -1
	s_and_b64 vcc, exec, s[8:9]
	s_cbranch_vccz .LBB21_752
; %bb.751:
	v_cvt_i32_f32_e32 v4, v24
	s_mov_b64 s[4:5], 0
	global_store_byte v[2:3], v4, off
.LBB21_752:
	s_andn2_b64 vcc, exec, s[4:5]
	s_cbranch_vccnz .LBB21_754
; %bb.753:
	v_trunc_f32_e32 v4, v24
	s_mov_b32 s4, 0x2f800000
	v_mul_f32_e64 v5, |v4|, s4
	v_floor_f32_e32 v5, v5
	s_mov_b32 s4, 0xcf800000
	v_fma_f32 v5, v5, s4, |v4|
	v_cvt_u32_f32_e32 v5, v5
	v_ashrrev_i32_e32 v4, 31, v4
	v_xor_b32_e32 v5, v5, v4
	v_sub_u32_e32 v4, v5, v4
	global_store_byte v[2:3], v4, off
.LBB21_754:
.LBB21_755:
	v_add_u32_e32 v1, s16, v1
	v_ashrrev_i32_e32 v3, 31, v1
	v_mov_b32_e32 v4, s37
	v_add_co_u32_e32 v2, vcc, s36, v1
	v_addc_co_u32_e32 v3, vcc, v4, v3, vcc
	v_mov_b32_e32 v4, 11
	v_cmp_lt_i16_sdwa s[4:5], v29, v4 src0_sel:BYTE_0 src1_sel:DWORD
	s_and_b64 vcc, exec, s[4:5]
	s_cbranch_vccnz .LBB21_762
; %bb.756:
	v_mov_b32_e32 v4, 25
	v_cmp_gt_i16_sdwa s[4:5], v29, v4 src0_sel:BYTE_0 src1_sel:DWORD
	s_mov_b64 s[12:13], -1
	s_mov_b64 s[8:9], 0
	s_and_b64 vcc, exec, s[4:5]
	s_mov_b64 s[10:11], 0
	s_mov_b64 s[4:5], 0
	s_cbranch_vccz .LBB21_876
; %bb.757:
	v_mov_b32_e32 v4, 28
	v_cmp_gt_i16_sdwa s[4:5], v29, v4 src0_sel:BYTE_0 src1_sel:DWORD
	s_and_b64 vcc, exec, s[4:5]
	s_cbranch_vccz .LBB21_841
; %bb.758:
	v_mov_b32_e32 v4, 43
	v_cmp_gt_i16_sdwa s[4:5], v29, v4 src0_sel:BYTE_0 src1_sel:DWORD
	s_and_b64 vcc, exec, s[4:5]
	;; [unrolled: 5-line block ×3, first 2 shown]
	s_cbranch_vccz .LBB21_848
; %bb.760:
	v_mov_b32_e32 v4, 46
	v_cmp_eq_u16_sdwa s[10:11], v29, v4 src0_sel:BYTE_0 src1_sel:DWORD
	s_mov_b64 s[4:5], -1
	s_mov_b64 s[12:13], 0
	s_and_b64 vcc, exec, s[10:11]
	s_mov_b64 s[10:11], 0
	s_cbranch_vccz .LBB21_849
; %bb.761:
	v_bfe_u32 v4, v22, 16, 1
	s_movk_i32 s4, 0x7fff
	v_add3_u32 v4, v22, v4, s4
	v_lshrrev_b32_e32 v4, 16, v4
	v_mov_b32_e32 v5, 0x7fc0
	v_cmp_o_f32_e32 vcc, v22, v22
	v_cndmask_b32_e32 v4, v5, v4, vcc
	global_store_dword v[2:3], v4, off
	s_mov_b64 s[4:5], 0
	s_mov_b64 s[10:11], -1
	s_branch .LBB21_849
.LBB21_762:
	s_mov_b64 s[10:11], 0
	s_cbranch_execnz .LBB21_920
.LBB21_763:
	s_andn2_b64 vcc, exec, s[10:11]
	s_cbranch_vccnz .LBB21_958
.LBB21_764:
	v_add_u32_e32 v1, s16, v1
	v_ashrrev_i32_e32 v3, 31, v1
	v_mov_b32_e32 v4, s37
	v_add_co_u32_e32 v2, vcc, s36, v1
	v_addc_co_u32_e32 v3, vcc, v4, v3, vcc
	v_and_b32_e32 v4, 0xff, v29
	v_cmp_gt_i16_e32 vcc, 11, v4
	s_cbranch_vccnz .LBB21_840
; %bb.765:
	v_cmp_lt_i16_e32 vcc, 25, v4
	s_mov_b64 s[10:11], -1
	s_mov_b64 s[8:9], 0
	s_mov_b64 s[4:5], 0
	s_cbranch_vccz .LBB21_798
; %bb.766:
	v_cmp_lt_i16_e32 vcc, 28, v4
	s_cbranch_vccz .LBB21_782
; %bb.767:
	v_cmp_lt_i16_e32 vcc, 43, v4
	;; [unrolled: 3-line block ×3, first 2 shown]
	s_cbranch_vccz .LBB21_772
; %bb.769:
	v_cmp_eq_u16_e32 vcc, 46, v4
	s_mov_b64 s[4:5], -1
	s_cbranch_vccz .LBB21_771
; %bb.770:
	v_bfe_u32 v1, v0, 16, 1
	s_movk_i32 s4, 0x7fff
	v_add3_u32 v1, v0, v1, s4
	v_lshrrev_b32_e32 v1, 16, v1
	v_mov_b32_e32 v5, 0x7fc0
	v_cmp_o_f32_e32 vcc, v0, v0
	v_cndmask_b32_e32 v1, v5, v1, vcc
	global_store_dword v[2:3], v1, off
	s_mov_b64 s[4:5], 0
.LBB21_771:
	s_mov_b64 s[10:11], 0
.LBB21_772:
	s_and_b64 vcc, exec, s[10:11]
	s_cbranch_vccz .LBB21_777
; %bb.773:
	v_cmp_eq_u16_e32 vcc, 44, v4
	s_mov_b64 s[4:5], -1
	s_cbranch_vccz .LBB21_777
; %bb.774:
	v_bfe_u32 v1, v0, 23, 8
	s_movk_i32 s4, 0xff
	v_cmp_ne_u32_e32 vcc, s4, v1
	v_mov_b32_e32 v5, 0xff
	s_and_saveexec_b64 s[10:11], vcc
; %bb.775:
	s_mov_b32 s4, 0x3fffff
	v_and_b32_e32 v6, 0x400000, v0
	v_and_or_b32 v1, v0, s4, v1
	v_cmp_ne_u32_e32 vcc, 0, v6
	v_cmp_ne_u32_e64 s[4:5], 0, v1
	s_and_b64 s[4:5], vcc, s[4:5]
	v_lshrrev_b32_e32 v5, 23, v0
	v_cndmask_b32_e64 v1, 0, 1, s[4:5]
	v_add_u32_e32 v5, v5, v1
; %bb.776:
	s_or_b64 exec, exec, s[10:11]
	s_mov_b64 s[4:5], 0
	global_store_byte v[2:3], v5, off
.LBB21_777:
	s_mov_b64 s[10:11], 0
.LBB21_778:
	s_and_b64 vcc, exec, s[10:11]
	s_cbranch_vccz .LBB21_781
; %bb.779:
	v_cmp_eq_u16_e32 vcc, 29, v4
	s_mov_b64 s[4:5], -1
	s_cbranch_vccz .LBB21_781
; %bb.780:
	v_trunc_f32_e32 v1, v0
	v_mul_f32_e32 v5, 0x2f800000, v1
	v_floor_f32_e32 v5, v5
	v_fmac_f32_e32 v1, 0xcf800000, v5
	v_cvt_u32_f32_e32 v7, v5
	v_cvt_u32_f32_e32 v6, v1
	s_mov_b64 s[4:5], 0
	global_store_dwordx2 v[2:3], v[6:7], off
.LBB21_781:
	s_mov_b64 s[10:11], 0
.LBB21_782:
	s_and_b64 vcc, exec, s[10:11]
	s_cbranch_vccz .LBB21_797
; %bb.783:
	v_cmp_gt_i16_e32 vcc, 27, v4
	s_mov_b64 s[10:11], -1
	s_cbranch_vccnz .LBB21_789
; %bb.784:
	v_cvt_u32_f32_e32 v1, v0
	v_cmp_lt_i16_e32 vcc, 27, v4
	s_cbranch_vccz .LBB21_786
; %bb.785:
	global_store_dword v[2:3], v1, off
	s_mov_b64 s[10:11], 0
.LBB21_786:
	s_andn2_b64 vcc, exec, s[10:11]
	s_cbranch_vccnz .LBB21_788
; %bb.787:
	global_store_short v[2:3], v1, off
.LBB21_788:
	s_mov_b64 s[10:11], 0
.LBB21_789:
	s_andn2_b64 vcc, exec, s[10:11]
	s_cbranch_vccnz .LBB21_797
; %bb.790:
	v_and_b32_e32 v1, 0x7fffffff, v0
	s_mov_b32 s10, 0x43800000
	v_cmp_gt_u32_e32 vcc, s10, v1
	v_mov_b32_e32 v5, 0x80
	s_and_saveexec_b64 s[10:11], vcc
	s_cbranch_execz .LBB21_796
; %bb.791:
	s_mov_b32 s12, 0x3bffffff
	v_cmp_lt_u32_e32 vcc, s12, v1
	s_mov_b64 s[12:13], 0
                                        ; implicit-def: $vgpr1
	s_and_saveexec_b64 s[14:15], vcc
	s_xor_b64 s[14:15], exec, s[14:15]
	s_cbranch_execz .LBB21_1008
; %bb.792:
	v_bfe_u32 v1, v0, 20, 1
	s_mov_b32 s16, 0x487ffff
	v_add3_u32 v1, v0, v1, s16
	s_mov_b64 s[12:13], exec
	v_lshrrev_b32_e32 v1, 20, v1
	s_or_saveexec_b64 s[14:15], s[14:15]
                                        ; implicit-def: $sgpr16
	s_xor_b64 exec, exec, s[14:15]
	s_cbranch_execnz .LBB21_1009
.LBB21_793:
	s_or_b64 exec, exec, s[14:15]
	v_mov_b32_e32 v5, s16
	s_and_saveexec_b64 s[14:15], s[12:13]
.LBB21_794:
	v_lshrrev_b32_e32 v5, 24, v0
	s_movk_i32 s12, 0x80
	v_and_or_b32 v5, v5, s12, v1
.LBB21_795:
	s_or_b64 exec, exec, s[14:15]
.LBB21_796:
	s_or_b64 exec, exec, s[10:11]
	global_store_byte v[2:3], v5, off
.LBB21_797:
	s_mov_b64 s[10:11], 0
.LBB21_798:
	s_and_b64 vcc, exec, s[10:11]
	s_cbranch_vccz .LBB21_838
; %bb.799:
	v_cmp_lt_i16_e32 vcc, 22, v4
	s_mov_b64 s[8:9], -1
	s_cbranch_vccz .LBB21_831
; %bb.800:
	v_cmp_gt_i16_e32 vcc, 24, v4
	s_cbranch_vccnz .LBB21_820
; %bb.801:
	v_cmp_lt_i16_e32 vcc, 24, v4
	s_cbranch_vccz .LBB21_809
; %bb.802:
	v_and_b32_e32 v1, 0x7fffffff, v0
	s_mov_b32 s8, 0x47800000
	v_cmp_gt_u32_e32 vcc, s8, v1
	v_mov_b32_e32 v5, 0x80
	s_and_saveexec_b64 s[8:9], vcc
	s_cbranch_execz .LBB21_808
; %bb.803:
	s_mov_b32 s10, 0x37ffffff
	v_cmp_lt_u32_e32 vcc, s10, v1
	s_mov_b64 s[10:11], 0
                                        ; implicit-def: $vgpr1
	s_and_saveexec_b64 s[12:13], vcc
	s_xor_b64 s[12:13], exec, s[12:13]
	s_cbranch_execz .LBB21_1017
; %bb.804:
	v_bfe_u32 v1, v0, 21, 1
	s_mov_b32 s14, 0x88fffff
	v_add3_u32 v1, v0, v1, s14
	s_mov_b64 s[10:11], exec
	v_lshrrev_b32_e32 v1, 21, v1
	s_or_saveexec_b64 s[12:13], s[12:13]
                                        ; implicit-def: $sgpr14
	s_xor_b64 exec, exec, s[12:13]
	s_cbranch_execnz .LBB21_1018
.LBB21_805:
	s_or_b64 exec, exec, s[12:13]
	v_mov_b32_e32 v5, s14
	s_and_saveexec_b64 s[12:13], s[10:11]
.LBB21_806:
	v_lshrrev_b32_e32 v5, 24, v0
	s_movk_i32 s10, 0x80
	v_and_or_b32 v5, v5, s10, v1
.LBB21_807:
	s_or_b64 exec, exec, s[12:13]
.LBB21_808:
	s_or_b64 exec, exec, s[8:9]
	s_mov_b64 s[8:9], 0
	global_store_byte v[2:3], v5, off
.LBB21_809:
	s_and_b64 vcc, exec, s[8:9]
	s_cbranch_vccz .LBB21_819
; %bb.810:
	v_and_b32_e32 v5, 0x7fffffff, v0
	s_mov_b32 s8, 0x43f00000
	v_cmp_gt_u32_e32 vcc, s8, v5
                                        ; implicit-def: $vgpr1
	s_and_saveexec_b64 s[8:9], vcc
	s_xor_b64 s[8:9], exec, s[8:9]
	s_cbranch_execz .LBB21_816
; %bb.811:
	s_mov_b32 s10, 0x3c7fffff
	v_cmp_lt_u32_e32 vcc, s10, v5
                                        ; implicit-def: $vgpr1
	s_and_saveexec_b64 s[10:11], vcc
	s_xor_b64 s[10:11], exec, s[10:11]
; %bb.812:
	v_bfe_u32 v1, v0, 20, 1
	s_mov_b32 s12, 0x407ffff
	v_add3_u32 v1, v0, v1, s12
	v_lshrrev_b32_e32 v5, 20, v1
	v_and_b32_e32 v1, 0xff00000, v1
	s_mov_b32 s12, 0x7f00000
	v_mov_b32_e32 v6, 0x7e
	v_cmp_ne_u32_e32 vcc, s12, v1
	v_cndmask_b32_e32 v1, v6, v5, vcc
; %bb.813:
	s_andn2_saveexec_b64 s[10:11], s[10:11]
; %bb.814:
	s_mov_b32 s12, 0x46800000
	v_add_f32_e64 v1, |v0|, s12
; %bb.815:
	s_or_b64 exec, exec, s[10:11]
                                        ; implicit-def: $vgpr5
.LBB21_816:
	s_andn2_saveexec_b64 s[8:9], s[8:9]
; %bb.817:
	s_mov_b32 s10, 0x7f800000
	v_mov_b32_e32 v1, 0x7e
	v_mov_b32_e32 v6, 0x7f
	v_cmp_lt_u32_e32 vcc, s10, v5
	v_cndmask_b32_e32 v1, v1, v6, vcc
; %bb.818:
	s_or_b64 exec, exec, s[8:9]
	v_lshrrev_b32_e32 v5, 24, v0
	s_movk_i32 s8, 0x80
	v_and_or_b32 v1, v5, s8, v1
	global_store_byte v[2:3], v1, off
.LBB21_819:
	s_mov_b64 s[8:9], 0
.LBB21_820:
	s_andn2_b64 vcc, exec, s[8:9]
	s_cbranch_vccnz .LBB21_830
; %bb.821:
	v_and_b32_e32 v5, 0x7fffffff, v0
	s_mov_b32 s8, 0x47800000
	v_cmp_gt_u32_e32 vcc, s8, v5
                                        ; implicit-def: $vgpr1
	s_and_saveexec_b64 s[8:9], vcc
	s_xor_b64 s[8:9], exec, s[8:9]
	s_cbranch_execz .LBB21_827
; %bb.822:
	s_mov_b32 s10, 0x387fffff
	v_cmp_lt_u32_e32 vcc, s10, v5
                                        ; implicit-def: $vgpr1
	s_and_saveexec_b64 s[10:11], vcc
	s_xor_b64 s[10:11], exec, s[10:11]
; %bb.823:
	v_bfe_u32 v1, v0, 21, 1
	s_mov_b32 s12, 0x80fffff
	v_add3_u32 v1, v0, v1, s12
	v_lshrrev_b32_e32 v1, 21, v1
; %bb.824:
	s_andn2_saveexec_b64 s[10:11], s[10:11]
; %bb.825:
	s_mov_b32 s12, 0x43000000
	v_add_f32_e64 v1, |v0|, s12
; %bb.826:
	s_or_b64 exec, exec, s[10:11]
                                        ; implicit-def: $vgpr5
.LBB21_827:
	s_andn2_saveexec_b64 s[8:9], s[8:9]
; %bb.828:
	s_mov_b32 s10, 0x7f800000
	v_mov_b32_e32 v1, 0x7c
	v_mov_b32_e32 v6, 0x7f
	v_cmp_lt_u32_e32 vcc, s10, v5
	v_cndmask_b32_e32 v1, v1, v6, vcc
; %bb.829:
	s_or_b64 exec, exec, s[8:9]
	v_lshrrev_b32_e32 v5, 24, v0
	s_movk_i32 s8, 0x80
	v_and_or_b32 v1, v5, s8, v1
	global_store_byte v[2:3], v1, off
.LBB21_830:
	s_mov_b64 s[8:9], 0
.LBB21_831:
	s_andn2_b64 vcc, exec, s[8:9]
	s_mov_b64 s[8:9], 0
	s_cbranch_vccnz .LBB21_838
; %bb.832:
	v_cmp_lt_i16_e32 vcc, 14, v4
	s_mov_b64 s[10:11], -1
	s_cbranch_vccz .LBB21_836
; %bb.833:
	v_cmp_eq_u16_e32 vcc, 15, v4
	s_mov_b64 s[4:5], -1
	s_cbranch_vccz .LBB21_835
; %bb.834:
	v_bfe_u32 v1, v0, 16, 1
	s_movk_i32 s4, 0x7fff
	v_add3_u32 v1, v0, v1, s4
	v_lshrrev_b32_e32 v1, 16, v1
	v_mov_b32_e32 v5, 0x7fc0
	v_cmp_o_f32_e32 vcc, v0, v0
	v_cndmask_b32_e32 v1, v5, v1, vcc
	global_store_short v[2:3], v1, off
	s_mov_b64 s[4:5], 0
.LBB21_835:
	s_mov_b64 s[10:11], 0
.LBB21_836:
	s_and_b64 vcc, exec, s[10:11]
	s_cbranch_vccz .LBB21_838
; %bb.837:
	v_cmp_ne_u16_e64 s[4:5], 11, v4
	s_mov_b64 s[8:9], -1
.LBB21_838:
	s_and_b64 vcc, exec, s[4:5]
	s_cbranch_vccnz .LBB21_1012
.LBB21_839:
	s_mov_b64 s[4:5], 0
	s_branch .LBB21_959
.LBB21_840:
	s_mov_b64 s[8:9], 0
	s_mov_b64 s[4:5], -1
	s_branch .LBB21_959
.LBB21_841:
	s_mov_b64 s[4:5], 0
	s_branch .LBB21_859
.LBB21_842:
	s_or_saveexec_b64 s[14:15], s[14:15]
                                        ; implicit-def: $sgpr17
	s_xor_b64 exec, exec, s[14:15]
	s_cbranch_execz .LBB21_667
.LBB21_843:
	s_mov_b32 s17, 0x46000000
	v_add_f32_e64 v4, |v24|, s17
	v_and_b32_e32 v4, 0xff, v4
	v_cmp_ne_u32_e32 vcc, 0, v4
	s_andn2_b64 s[12:13], s[12:13], exec
	s_and_b64 s[18:19], vcc, exec
	s_mov_b32 s17, 0
	s_or_b64 s[12:13], s[12:13], s[18:19]
	s_or_b64 exec, exec, s[14:15]
	v_mov_b32_e32 v5, s17
	s_and_saveexec_b64 s[14:15], s[12:13]
	s_cbranch_execnz .LBB21_668
	s_branch .LBB21_669
.LBB21_844:
	s_mov_b64 s[4:5], 0
	s_branch .LBB21_855
.LBB21_845:
	s_trap 2
	s_or_b64 s[6:7], s[6:7], exec
	s_cbranch_execz .LBB21_715
	s_branch .LBB21_716
.LBB21_846:
	s_or_saveexec_b64 s[12:13], s[12:13]
                                        ; implicit-def: $sgpr14
	s_xor_b64 exec, exec, s[12:13]
	s_cbranch_execz .LBB21_680
.LBB21_847:
	s_mov_b32 s14, 0x42800000
	v_add_f32_e64 v4, |v24|, s14
	v_and_b32_e32 v4, 0xff, v4
	v_cmp_ne_u32_e32 vcc, 0, v4
	s_andn2_b64 s[10:11], s[10:11], exec
	s_and_b64 s[18:19], vcc, exec
	s_mov_b32 s14, 0
	s_or_b64 s[10:11], s[10:11], s[18:19]
	s_or_b64 exec, exec, s[12:13]
	v_mov_b32_e32 v5, s14
	s_and_saveexec_b64 s[12:13], s[10:11]
	s_cbranch_execnz .LBB21_681
	s_branch .LBB21_682
.LBB21_848:
	s_mov_b64 s[4:5], 0
.LBB21_849:
	s_and_b64 vcc, exec, s[12:13]
	s_cbranch_vccz .LBB21_854
; %bb.850:
	v_mov_b32_e32 v4, 44
	v_cmp_eq_u16_sdwa s[12:13], v29, v4 src0_sel:BYTE_0 src1_sel:DWORD
	s_mov_b64 s[4:5], -1
	s_and_b64 vcc, exec, s[12:13]
	s_cbranch_vccz .LBB21_854
; %bb.851:
	v_bfe_u32 v4, v22, 23, 8
	s_movk_i32 s4, 0xff
	v_cmp_ne_u32_e32 vcc, s4, v4
	v_mov_b32_e32 v5, 0xff
	s_and_saveexec_b64 s[10:11], vcc
; %bb.852:
	s_mov_b32 s4, 0x3fffff
	v_and_b32_e32 v6, 0x400000, v22
	v_and_or_b32 v4, v22, s4, v4
	v_cmp_ne_u32_e32 vcc, 0, v6
	v_cmp_ne_u32_e64 s[4:5], 0, v4
	s_and_b64 s[4:5], vcc, s[4:5]
	v_lshrrev_b32_e32 v5, 23, v22
	v_cndmask_b32_e64 v4, 0, 1, s[4:5]
	v_add_u32_e32 v5, v5, v4
; %bb.853:
	s_or_b64 exec, exec, s[10:11]
	s_mov_b64 s[4:5], 0
	s_mov_b64 s[10:11], -1
	global_store_byte v[2:3], v5, off
.LBB21_854:
	s_mov_b64 s[12:13], 0
.LBB21_855:
	s_and_b64 vcc, exec, s[12:13]
	s_cbranch_vccz .LBB21_858
; %bb.856:
	v_mov_b32_e32 v4, 29
	v_cmp_eq_u16_sdwa s[12:13], v29, v4 src0_sel:BYTE_0 src1_sel:DWORD
	s_mov_b64 s[4:5], -1
	s_and_b64 vcc, exec, s[12:13]
	s_cbranch_vccz .LBB21_858
; %bb.857:
	v_trunc_f32_e32 v4, v22
	v_mul_f32_e32 v5, 0x2f800000, v4
	v_floor_f32_e32 v6, v5
	v_fmac_f32_e32 v4, 0xcf800000, v6
	v_cvt_u32_f32_e32 v5, v6
	v_cvt_u32_f32_e32 v4, v4
	s_mov_b64 s[4:5], 0
	s_mov_b64 s[10:11], -1
	s_mov_b64 s[12:13], 0
	global_store_dwordx2 v[2:3], v[4:5], off
	s_branch .LBB21_859
.LBB21_858:
	s_mov_b64 s[12:13], 0
.LBB21_859:
	s_and_b64 vcc, exec, s[12:13]
	s_cbranch_vccz .LBB21_875
; %bb.860:
	v_mov_b32_e32 v4, 27
	v_cmp_lt_i16_sdwa s[12:13], v29, v4 src0_sel:BYTE_0 src1_sel:DWORD
	s_mov_b64 s[10:11], -1
	s_and_b64 vcc, exec, s[12:13]
	s_cbranch_vccnz .LBB21_866
; %bb.861:
	v_cmp_gt_i16_sdwa s[12:13], v29, v4 src0_sel:BYTE_0 src1_sel:DWORD
	v_cvt_u32_f32_e32 v4, v22
	s_and_b64 vcc, exec, s[12:13]
	s_cbranch_vccz .LBB21_863
; %bb.862:
	s_mov_b64 s[10:11], 0
	global_store_dword v[2:3], v4, off
.LBB21_863:
	s_andn2_b64 vcc, exec, s[10:11]
	s_cbranch_vccnz .LBB21_865
; %bb.864:
	global_store_short v[2:3], v4, off
.LBB21_865:
	s_mov_b64 s[10:11], 0
.LBB21_866:
	s_andn2_b64 vcc, exec, s[10:11]
	s_cbranch_vccnz .LBB21_874
; %bb.867:
	v_and_b32_e32 v4, 0x7fffffff, v22
	s_mov_b32 s10, 0x43800000
	v_cmp_gt_u32_e32 vcc, s10, v4
	v_mov_b32_e32 v5, 0x80
	s_and_saveexec_b64 s[10:11], vcc
	s_cbranch_execz .LBB21_873
; %bb.868:
	s_mov_b32 s12, 0x3bffffff
	v_cmp_lt_u32_e32 vcc, s12, v4
	s_mov_b64 s[12:13], 0
                                        ; implicit-def: $vgpr4
	s_and_saveexec_b64 s[14:15], vcc
	s_xor_b64 s[14:15], exec, s[14:15]
	s_cbranch_execz .LBB21_1003
; %bb.869:
	v_bfe_u32 v4, v22, 20, 1
	s_mov_b32 s17, 0x487ffff
	v_add3_u32 v4, v22, v4, s17
	s_mov_b64 s[12:13], exec
	v_lshrrev_b32_e32 v4, 20, v4
	s_or_saveexec_b64 s[14:15], s[14:15]
                                        ; implicit-def: $sgpr17
	s_xor_b64 exec, exec, s[14:15]
	s_cbranch_execnz .LBB21_1004
.LBB21_870:
	s_or_b64 exec, exec, s[14:15]
	v_mov_b32_e32 v5, s17
	s_and_saveexec_b64 s[14:15], s[12:13]
.LBB21_871:
	v_lshrrev_b32_e32 v5, 24, v22
	s_movk_i32 s12, 0x80
	v_and_or_b32 v5, v5, s12, v4
.LBB21_872:
	s_or_b64 exec, exec, s[14:15]
.LBB21_873:
	s_or_b64 exec, exec, s[10:11]
	global_store_byte v[2:3], v5, off
.LBB21_874:
	s_mov_b64 s[10:11], -1
.LBB21_875:
	s_mov_b64 s[12:13], 0
.LBB21_876:
	s_and_b64 vcc, exec, s[12:13]
	s_cbranch_vccz .LBB21_916
; %bb.877:
	v_mov_b32_e32 v4, 22
	v_cmp_gt_i16_sdwa s[12:13], v29, v4 src0_sel:BYTE_0 src1_sel:DWORD
	s_mov_b64 s[8:9], -1
	s_and_b64 vcc, exec, s[12:13]
	s_cbranch_vccz .LBB21_909
; %bb.878:
	v_mov_b32_e32 v4, 24
	v_cmp_lt_i16_sdwa s[10:11], v29, v4 src0_sel:BYTE_0 src1_sel:DWORD
	s_and_b64 vcc, exec, s[10:11]
	s_cbranch_vccnz .LBB21_898
; %bb.879:
	v_cmp_gt_i16_sdwa s[10:11], v29, v4 src0_sel:BYTE_0 src1_sel:DWORD
	s_and_b64 vcc, exec, s[10:11]
	s_cbranch_vccz .LBB21_887
; %bb.880:
	v_and_b32_e32 v4, 0x7fffffff, v22
	s_mov_b32 s8, 0x47800000
	v_cmp_gt_u32_e32 vcc, s8, v4
	v_mov_b32_e32 v5, 0x80
	s_and_saveexec_b64 s[8:9], vcc
	s_cbranch_execz .LBB21_886
; %bb.881:
	s_mov_b32 s10, 0x37ffffff
	v_cmp_lt_u32_e32 vcc, s10, v4
	s_mov_b64 s[10:11], 0
                                        ; implicit-def: $vgpr4
	s_and_saveexec_b64 s[12:13], vcc
	s_xor_b64 s[12:13], exec, s[12:13]
	s_cbranch_execz .LBB21_1010
; %bb.882:
	v_bfe_u32 v4, v22, 21, 1
	s_mov_b32 s14, 0x88fffff
	v_add3_u32 v4, v22, v4, s14
	s_mov_b64 s[10:11], exec
	v_lshrrev_b32_e32 v4, 21, v4
	s_or_saveexec_b64 s[12:13], s[12:13]
                                        ; implicit-def: $sgpr14
	s_xor_b64 exec, exec, s[12:13]
	s_cbranch_execnz .LBB21_1011
.LBB21_883:
	s_or_b64 exec, exec, s[12:13]
	v_mov_b32_e32 v5, s14
	s_and_saveexec_b64 s[12:13], s[10:11]
.LBB21_884:
	v_lshrrev_b32_e32 v5, 24, v22
	s_movk_i32 s10, 0x80
	v_and_or_b32 v5, v5, s10, v4
.LBB21_885:
	s_or_b64 exec, exec, s[12:13]
.LBB21_886:
	s_or_b64 exec, exec, s[8:9]
	s_mov_b64 s[8:9], 0
	global_store_byte v[2:3], v5, off
.LBB21_887:
	s_and_b64 vcc, exec, s[8:9]
	s_cbranch_vccz .LBB21_897
; %bb.888:
	v_and_b32_e32 v5, 0x7fffffff, v22
	s_mov_b32 s8, 0x43f00000
	v_cmp_gt_u32_e32 vcc, s8, v5
                                        ; implicit-def: $vgpr4
	s_and_saveexec_b64 s[8:9], vcc
	s_xor_b64 s[8:9], exec, s[8:9]
	s_cbranch_execz .LBB21_894
; %bb.889:
	s_mov_b32 s10, 0x3c7fffff
	v_cmp_lt_u32_e32 vcc, s10, v5
                                        ; implicit-def: $vgpr4
	s_and_saveexec_b64 s[10:11], vcc
	s_xor_b64 s[10:11], exec, s[10:11]
; %bb.890:
	v_bfe_u32 v4, v22, 20, 1
	s_mov_b32 s12, 0x407ffff
	v_add3_u32 v4, v22, v4, s12
	v_lshrrev_b32_e32 v5, 20, v4
	v_and_b32_e32 v4, 0xff00000, v4
	s_mov_b32 s12, 0x7f00000
	v_mov_b32_e32 v6, 0x7e
	v_cmp_ne_u32_e32 vcc, s12, v4
	v_cndmask_b32_e32 v4, v6, v5, vcc
; %bb.891:
	s_andn2_saveexec_b64 s[10:11], s[10:11]
; %bb.892:
	s_mov_b32 s12, 0x46800000
	v_add_f32_e64 v4, |v22|, s12
; %bb.893:
	s_or_b64 exec, exec, s[10:11]
                                        ; implicit-def: $vgpr5
.LBB21_894:
	s_andn2_saveexec_b64 s[8:9], s[8:9]
; %bb.895:
	s_mov_b32 s10, 0x7f800000
	v_mov_b32_e32 v4, 0x7e
	v_mov_b32_e32 v6, 0x7f
	v_cmp_lt_u32_e32 vcc, s10, v5
	v_cndmask_b32_e32 v4, v4, v6, vcc
; %bb.896:
	s_or_b64 exec, exec, s[8:9]
	v_lshrrev_b32_e32 v5, 24, v22
	s_movk_i32 s8, 0x80
	v_and_or_b32 v4, v5, s8, v4
	global_store_byte v[2:3], v4, off
.LBB21_897:
	s_mov_b64 s[8:9], 0
.LBB21_898:
	s_andn2_b64 vcc, exec, s[8:9]
	s_cbranch_vccnz .LBB21_908
; %bb.899:
	v_and_b32_e32 v5, 0x7fffffff, v22
	s_mov_b32 s8, 0x47800000
	v_cmp_gt_u32_e32 vcc, s8, v5
                                        ; implicit-def: $vgpr4
	s_and_saveexec_b64 s[8:9], vcc
	s_xor_b64 s[8:9], exec, s[8:9]
	s_cbranch_execz .LBB21_905
; %bb.900:
	s_mov_b32 s10, 0x387fffff
	v_cmp_lt_u32_e32 vcc, s10, v5
                                        ; implicit-def: $vgpr4
	s_and_saveexec_b64 s[10:11], vcc
	s_xor_b64 s[10:11], exec, s[10:11]
; %bb.901:
	v_bfe_u32 v4, v22, 21, 1
	s_mov_b32 s12, 0x80fffff
	v_add3_u32 v4, v22, v4, s12
	v_lshrrev_b32_e32 v4, 21, v4
; %bb.902:
	s_andn2_saveexec_b64 s[10:11], s[10:11]
; %bb.903:
	s_mov_b32 s12, 0x43000000
	v_add_f32_e64 v4, |v22|, s12
; %bb.904:
	s_or_b64 exec, exec, s[10:11]
                                        ; implicit-def: $vgpr5
.LBB21_905:
	s_andn2_saveexec_b64 s[8:9], s[8:9]
; %bb.906:
	s_mov_b32 s10, 0x7f800000
	v_mov_b32_e32 v4, 0x7c
	v_mov_b32_e32 v6, 0x7f
	v_cmp_lt_u32_e32 vcc, s10, v5
	v_cndmask_b32_e32 v4, v4, v6, vcc
; %bb.907:
	s_or_b64 exec, exec, s[8:9]
	v_lshrrev_b32_e32 v5, 24, v22
	s_movk_i32 s8, 0x80
	v_and_or_b32 v4, v5, s8, v4
	global_store_byte v[2:3], v4, off
.LBB21_908:
	s_mov_b64 s[8:9], 0
	s_mov_b64 s[10:11], -1
.LBB21_909:
	s_andn2_b64 vcc, exec, s[8:9]
	s_mov_b64 s[8:9], 0
	s_cbranch_vccnz .LBB21_916
; %bb.910:
	v_mov_b32_e32 v4, 14
	v_cmp_gt_i16_sdwa s[8:9], v29, v4 src0_sel:BYTE_0 src1_sel:DWORD
	s_mov_b64 s[12:13], -1
	s_and_b64 vcc, exec, s[8:9]
	s_cbranch_vccz .LBB21_914
; %bb.911:
	v_mov_b32_e32 v4, 15
	v_cmp_eq_u16_sdwa s[8:9], v29, v4 src0_sel:BYTE_0 src1_sel:DWORD
	s_mov_b64 s[4:5], -1
	s_and_b64 vcc, exec, s[8:9]
	s_cbranch_vccz .LBB21_913
; %bb.912:
	v_bfe_u32 v4, v22, 16, 1
	s_movk_i32 s4, 0x7fff
	v_add3_u32 v4, v22, v4, s4
	v_lshrrev_b32_e32 v4, 16, v4
	v_mov_b32_e32 v5, 0x7fc0
	v_cmp_o_f32_e32 vcc, v22, v22
	v_cndmask_b32_e32 v4, v5, v4, vcc
	global_store_short v[2:3], v4, off
	s_mov_b64 s[4:5], 0
	s_mov_b64 s[10:11], -1
.LBB21_913:
	s_mov_b64 s[12:13], 0
.LBB21_914:
	s_mov_b64 s[8:9], 0
	s_and_b64 vcc, exec, s[12:13]
	s_cbranch_vccz .LBB21_916
; %bb.915:
	v_mov_b32_e32 v4, 11
	v_cmp_ne_u16_sdwa s[4:5], v29, v4 src0_sel:BYTE_0 src1_sel:DWORD
	s_mov_b64 s[8:9], -1
.LBB21_916:
	s_and_b64 vcc, exec, s[4:5]
	s_cbranch_vccnz .LBB21_1005
; %bb.917:
	s_andn2_b64 vcc, exec, s[8:9]
	s_cbranch_vccnz .LBB21_919
.LBB21_918:
	v_cmp_neq_f32_e32 vcc, 0, v22
	v_cndmask_b32_e64 v4, 0, 1, vcc
	s_mov_b64 s[10:11], -1
	global_store_byte v[2:3], v4, off
.LBB21_919:
	s_branch .LBB21_763
.LBB21_920:
	v_mov_b32_e32 v4, 5
	v_cmp_lt_i16_sdwa s[8:9], v29, v4 src0_sel:BYTE_0 src1_sel:DWORD
	s_mov_b64 s[4:5], -1
	s_and_b64 vcc, exec, s[8:9]
	s_cbranch_vccnz .LBB21_941
; %bb.921:
	v_mov_b32_e32 v4, 8
	v_cmp_lt_i16_sdwa s[8:9], v29, v4 src0_sel:BYTE_0 src1_sel:DWORD
	s_and_b64 vcc, exec, s[8:9]
	s_cbranch_vccnz .LBB21_931
; %bb.922:
	v_mov_b32_e32 v4, 9
	v_cmp_lt_i16_sdwa s[8:9], v29, v4 src0_sel:BYTE_0 src1_sel:DWORD
	s_and_b64 vcc, exec, s[8:9]
	s_cbranch_vccnz .LBB21_928
; %bb.923:
	v_cmp_gt_i16_sdwa s[8:9], v29, v4 src0_sel:BYTE_0 src1_sel:DWORD
	s_and_b64 vcc, exec, s[8:9]
	s_cbranch_vccz .LBB21_925
; %bb.924:
	v_mov_b32_e32 v6, 0
	v_cvt_f64_f32_e32 v[4:5], v22
	v_mov_b32_e32 v7, v6
	global_store_dwordx4 v[2:3], v[4:7], off
	s_mov_b64 s[4:5], 0
.LBB21_925:
	s_andn2_b64 vcc, exec, s[4:5]
	s_cbranch_vccnz .LBB21_927
; %bb.926:
	v_mov_b32_e32 v23, 0
	global_store_dwordx2 v[2:3], v[22:23], off
.LBB21_927:
	s_mov_b64 s[4:5], 0
.LBB21_928:
	s_andn2_b64 vcc, exec, s[4:5]
	s_cbranch_vccnz .LBB21_930
; %bb.929:
	v_cvt_f16_f32_e32 v4, v22
	global_store_dword v[2:3], v4, off
.LBB21_930:
	s_mov_b64 s[4:5], 0
.LBB21_931:
	s_andn2_b64 vcc, exec, s[4:5]
	s_cbranch_vccnz .LBB21_940
; %bb.932:
	v_mov_b32_e32 v4, 6
	v_cmp_lt_i16_sdwa s[8:9], v29, v4 src0_sel:BYTE_0 src1_sel:DWORD
	s_mov_b64 s[4:5], -1
	s_and_b64 vcc, exec, s[8:9]
	s_cbranch_vccnz .LBB21_938
; %bb.933:
	v_cmp_gt_i16_sdwa s[8:9], v29, v4 src0_sel:BYTE_0 src1_sel:DWORD
	s_and_b64 vcc, exec, s[8:9]
	s_cbranch_vccz .LBB21_935
; %bb.934:
	v_cvt_f64_f32_e32 v[4:5], v22
	global_store_dwordx2 v[2:3], v[4:5], off
	s_mov_b64 s[4:5], 0
.LBB21_935:
	s_andn2_b64 vcc, exec, s[4:5]
	s_cbranch_vccnz .LBB21_937
; %bb.936:
	global_store_dword v[2:3], v22, off
.LBB21_937:
	s_mov_b64 s[4:5], 0
.LBB21_938:
	s_andn2_b64 vcc, exec, s[4:5]
	s_cbranch_vccnz .LBB21_940
; %bb.939:
	v_cvt_f16_f32_e32 v4, v22
	global_store_short v[2:3], v4, off
.LBB21_940:
	s_mov_b64 s[4:5], 0
.LBB21_941:
	s_andn2_b64 vcc, exec, s[4:5]
	s_cbranch_vccnz .LBB21_957
; %bb.942:
	v_mov_b32_e32 v4, 2
	v_cmp_lt_i16_sdwa s[8:9], v29, v4 src0_sel:BYTE_0 src1_sel:DWORD
	s_mov_b64 s[4:5], -1
	s_and_b64 vcc, exec, s[8:9]
	s_cbranch_vccnz .LBB21_952
; %bb.943:
	v_mov_b32_e32 v4, 3
	v_cmp_lt_i16_sdwa s[8:9], v29, v4 src0_sel:BYTE_0 src1_sel:DWORD
	s_and_b64 vcc, exec, s[8:9]
	s_cbranch_vccnz .LBB21_949
; %bb.944:
	v_cmp_gt_i16_sdwa s[8:9], v29, v4 src0_sel:BYTE_0 src1_sel:DWORD
	s_and_b64 vcc, exec, s[8:9]
	s_cbranch_vccz .LBB21_946
; %bb.945:
	v_trunc_f32_e32 v4, v22
	s_mov_b32 s4, 0x2f800000
	v_mul_f32_e64 v5, |v4|, s4
	v_floor_f32_e32 v5, v5
	s_mov_b32 s4, 0xcf800000
	v_cvt_u32_f32_e32 v6, v5
	v_fma_f32 v5, v5, s4, |v4|
	v_cvt_u32_f32_e32 v5, v5
	v_ashrrev_i32_e32 v7, 31, v4
	v_xor_b32_e32 v6, v6, v7
	s_mov_b64 s[4:5], 0
	v_xor_b32_e32 v4, v5, v7
	v_sub_co_u32_e32 v4, vcc, v4, v7
	v_subb_co_u32_e32 v5, vcc, v6, v7, vcc
	global_store_dwordx2 v[2:3], v[4:5], off
.LBB21_946:
	s_andn2_b64 vcc, exec, s[4:5]
	s_cbranch_vccnz .LBB21_948
; %bb.947:
	v_cvt_i32_f32_e32 v4, v22
	global_store_dword v[2:3], v4, off
.LBB21_948:
	s_mov_b64 s[4:5], 0
.LBB21_949:
	s_andn2_b64 vcc, exec, s[4:5]
	s_cbranch_vccnz .LBB21_951
; %bb.950:
	v_cvt_i32_f32_e32 v4, v22
	global_store_short v[2:3], v4, off
.LBB21_951:
	s_mov_b64 s[4:5], 0
.LBB21_952:
	s_andn2_b64 vcc, exec, s[4:5]
	s_cbranch_vccnz .LBB21_957
; %bb.953:
	v_mov_b32_e32 v4, 0
	v_cmp_gt_i16_sdwa s[8:9], v29, v4 src0_sel:BYTE_0 src1_sel:DWORD
	s_mov_b64 s[4:5], -1
	s_and_b64 vcc, exec, s[8:9]
	s_cbranch_vccz .LBB21_955
; %bb.954:
	v_cvt_i32_f32_e32 v4, v22
	s_mov_b64 s[4:5], 0
	global_store_byte v[2:3], v4, off
.LBB21_955:
	s_andn2_b64 vcc, exec, s[4:5]
	s_cbranch_vccnz .LBB21_957
; %bb.956:
	v_trunc_f32_e32 v4, v22
	s_mov_b32 s4, 0x2f800000
	v_mul_f32_e64 v5, |v4|, s4
	v_floor_f32_e32 v5, v5
	s_mov_b32 s4, 0xcf800000
	v_fma_f32 v5, v5, s4, |v4|
	v_cvt_u32_f32_e32 v5, v5
	v_ashrrev_i32_e32 v4, 31, v4
	v_xor_b32_e32 v5, v5, v4
	v_sub_u32_e32 v4, v5, v4
	global_store_byte v[2:3], v4, off
.LBB21_957:
	s_branch .LBB21_764
.LBB21_958:
	s_mov_b64 s[4:5], 0
	s_mov_b64 s[8:9], 0
                                        ; implicit-def: $vgpr4
                                        ; implicit-def: $vgpr2_vgpr3
.LBB21_959:
	s_and_b64 s[34:35], s[8:9], exec
	s_andn2_b64 s[8:9], s[42:43], exec
	s_and_b64 s[6:7], s[6:7], exec
	s_and_b64 s[4:5], s[4:5], exec
	s_or_b64 s[42:43], s[8:9], s[6:7]
.LBB21_960:
	s_or_b64 exec, exec, s[40:41]
	s_and_saveexec_b64 s[6:7], s[42:43]
	s_cbranch_execz .LBB21_963
; %bb.961:
	; divergent unreachable
	s_or_b64 exec, exec, s[6:7]
	s_and_saveexec_b64 s[6:7], s[34:35]
	s_xor_b64 s[6:7], exec, s[6:7]
	s_cbranch_execnz .LBB21_964
.LBB21_962:
	s_or_b64 exec, exec, s[6:7]
	s_and_saveexec_b64 s[6:7], s[4:5]
	s_cbranch_execnz .LBB21_965
	s_branch .LBB21_1002
.LBB21_963:
	s_or_b64 exec, exec, s[6:7]
	s_and_saveexec_b64 s[6:7], s[34:35]
	s_xor_b64 s[6:7], exec, s[6:7]
	s_cbranch_execz .LBB21_962
.LBB21_964:
	v_cmp_neq_f32_e32 vcc, 0, v0
	v_cndmask_b32_e64 v1, 0, 1, vcc
	global_store_byte v[2:3], v1, off
	s_or_b64 exec, exec, s[6:7]
	s_and_saveexec_b64 s[6:7], s[4:5]
	s_cbranch_execz .LBB21_1002
.LBB21_965:
	v_cmp_gt_i16_e32 vcc, 5, v4
	s_mov_b64 s[4:5], -1
	s_cbranch_vccnz .LBB21_986
; %bb.966:
	v_cmp_gt_i16_e32 vcc, 8, v4
	s_cbranch_vccnz .LBB21_976
; %bb.967:
	v_cmp_gt_i16_e32 vcc, 9, v4
	s_cbranch_vccnz .LBB21_973
; %bb.968:
	v_cmp_lt_i16_e32 vcc, 9, v4
	s_cbranch_vccz .LBB21_970
; %bb.969:
	v_mov_b32_e32 v8, 0
	v_cvt_f64_f32_e32 v[6:7], v0
	v_mov_b32_e32 v9, v8
	global_store_dwordx4 v[2:3], v[6:9], off
	s_mov_b64 s[4:5], 0
.LBB21_970:
	s_andn2_b64 vcc, exec, s[4:5]
	s_cbranch_vccnz .LBB21_972
; %bb.971:
	v_mov_b32_e32 v1, 0
	global_store_dwordx2 v[2:3], v[0:1], off
.LBB21_972:
	s_mov_b64 s[4:5], 0
.LBB21_973:
	s_andn2_b64 vcc, exec, s[4:5]
	s_cbranch_vccnz .LBB21_975
; %bb.974:
	v_cvt_f16_f32_e32 v1, v0
	global_store_dword v[2:3], v1, off
.LBB21_975:
	s_mov_b64 s[4:5], 0
.LBB21_976:
	s_andn2_b64 vcc, exec, s[4:5]
	s_cbranch_vccnz .LBB21_985
; %bb.977:
	v_cmp_gt_i16_e32 vcc, 6, v4
	s_mov_b64 s[4:5], -1
	s_cbranch_vccnz .LBB21_983
; %bb.978:
	v_cmp_lt_i16_e32 vcc, 6, v4
	s_cbranch_vccz .LBB21_980
; %bb.979:
	v_cvt_f64_f32_e32 v[6:7], v0
	global_store_dwordx2 v[2:3], v[6:7], off
	s_mov_b64 s[4:5], 0
.LBB21_980:
	s_andn2_b64 vcc, exec, s[4:5]
	s_cbranch_vccnz .LBB21_982
; %bb.981:
	global_store_dword v[2:3], v0, off
.LBB21_982:
	s_mov_b64 s[4:5], 0
.LBB21_983:
	s_andn2_b64 vcc, exec, s[4:5]
	s_cbranch_vccnz .LBB21_985
; %bb.984:
	v_cvt_f16_f32_e32 v1, v0
	global_store_short v[2:3], v1, off
.LBB21_985:
	s_mov_b64 s[4:5], 0
.LBB21_986:
	s_andn2_b64 vcc, exec, s[4:5]
	s_cbranch_vccnz .LBB21_1002
; %bb.987:
	v_cmp_gt_i16_e32 vcc, 2, v4
	s_mov_b64 s[4:5], -1
	s_cbranch_vccnz .LBB21_997
; %bb.988:
	v_cmp_gt_i16_e32 vcc, 3, v4
	s_cbranch_vccnz .LBB21_994
; %bb.989:
	v_cmp_lt_i16_e32 vcc, 3, v4
	s_cbranch_vccz .LBB21_991
; %bb.990:
	v_trunc_f32_e32 v1, v0
	s_mov_b32 s4, 0x2f800000
	v_mul_f32_e64 v5, |v1|, s4
	v_floor_f32_e32 v5, v5
	s_mov_b32 s4, 0xcf800000
	v_cvt_u32_f32_e32 v6, v5
	v_fma_f32 v5, v5, s4, |v1|
	v_cvt_u32_f32_e32 v5, v5
	v_ashrrev_i32_e32 v1, 31, v1
	v_xor_b32_e32 v7, v6, v1
	s_mov_b64 s[4:5], 0
	v_xor_b32_e32 v5, v5, v1
	v_sub_co_u32_e32 v6, vcc, v5, v1
	v_subb_co_u32_e32 v7, vcc, v7, v1, vcc
	global_store_dwordx2 v[2:3], v[6:7], off
.LBB21_991:
	s_andn2_b64 vcc, exec, s[4:5]
	s_cbranch_vccnz .LBB21_993
; %bb.992:
	v_cvt_i32_f32_e32 v1, v0
	global_store_dword v[2:3], v1, off
.LBB21_993:
	s_mov_b64 s[4:5], 0
.LBB21_994:
	s_andn2_b64 vcc, exec, s[4:5]
	s_cbranch_vccnz .LBB21_996
; %bb.995:
	v_cvt_i32_f32_e32 v1, v0
	global_store_short v[2:3], v1, off
.LBB21_996:
	s_mov_b64 s[4:5], 0
.LBB21_997:
	s_andn2_b64 vcc, exec, s[4:5]
	s_cbranch_vccnz .LBB21_1002
; %bb.998:
	v_cmp_lt_i16_e32 vcc, 0, v4
	s_mov_b64 s[4:5], -1
	s_cbranch_vccz .LBB21_1000
; %bb.999:
	v_cvt_i32_f32_e32 v1, v0
	s_mov_b64 s[4:5], 0
	global_store_byte v[2:3], v1, off
.LBB21_1000:
	s_andn2_b64 vcc, exec, s[4:5]
	s_cbranch_vccnz .LBB21_1002
; %bb.1001:
	v_trunc_f32_e32 v0, v0
	s_mov_b32 s4, 0x2f800000
	v_mul_f32_e64 v1, |v0|, s4
	v_floor_f32_e32 v1, v1
	s_mov_b32 s4, 0xcf800000
	v_fma_f32 v1, v1, s4, |v0|
	v_cvt_u32_f32_e32 v1, v1
	v_ashrrev_i32_e32 v0, 31, v0
	v_xor_b32_e32 v1, v1, v0
	v_sub_u32_e32 v0, v1, v0
	global_store_byte v[2:3], v0, off
	s_endpgm
.LBB21_1002:
	s_endpgm
.LBB21_1003:
	s_or_saveexec_b64 s[14:15], s[14:15]
                                        ; implicit-def: $sgpr17
	s_xor_b64 exec, exec, s[14:15]
	s_cbranch_execz .LBB21_870
.LBB21_1004:
	s_mov_b32 s17, 0x46000000
	v_add_f32_e64 v4, |v22|, s17
	v_and_b32_e32 v4, 0xff, v4
	v_cmp_ne_u32_e32 vcc, 0, v4
	s_andn2_b64 s[12:13], s[12:13], exec
	s_and_b64 s[18:19], vcc, exec
	s_mov_b32 s17, 0
	s_or_b64 s[12:13], s[12:13], s[18:19]
	s_or_b64 exec, exec, s[14:15]
	v_mov_b32_e32 v5, s17
	s_and_saveexec_b64 s[14:15], s[12:13]
	s_cbranch_execnz .LBB21_871
	s_branch .LBB21_872
.LBB21_1005:
	s_trap 2
	s_or_b64 s[6:7], s[6:7], exec
	s_cbranch_execz .LBB21_918
	s_branch .LBB21_919
.LBB21_1006:
	s_or_saveexec_b64 s[10:11], s[10:11]
                                        ; implicit-def: $sgpr12
	s_xor_b64 exec, exec, s[10:11]
	s_cbranch_execz .LBB21_295
.LBB21_1007:
	s_mov_b32 s12, 0x46000000
	v_add_f32_e64 v1, |v0|, s12
	v_and_b32_e32 v1, 0xff, v1
	v_cmp_ne_u32_e32 vcc, 0, v1
	s_andn2_b64 s[8:9], s[8:9], exec
	s_and_b64 s[14:15], vcc, exec
	s_mov_b32 s12, 0
	s_or_b64 s[8:9], s[8:9], s[14:15]
	s_or_b64 exec, exec, s[10:11]
	v_mov_b32_e32 v4, s12
	s_and_saveexec_b64 s[10:11], s[8:9]
	s_cbranch_execnz .LBB21_296
	s_branch .LBB21_297
.LBB21_1008:
	s_or_saveexec_b64 s[14:15], s[14:15]
                                        ; implicit-def: $sgpr16
	s_xor_b64 exec, exec, s[14:15]
	s_cbranch_execz .LBB21_793
.LBB21_1009:
	s_mov_b32 s16, 0x46000000
	v_add_f32_e64 v1, |v0|, s16
	v_and_b32_e32 v1, 0xff, v1
	v_cmp_ne_u32_e32 vcc, 0, v1
	s_andn2_b64 s[12:13], s[12:13], exec
	s_and_b64 s[18:19], vcc, exec
	s_mov_b32 s16, 0
	s_or_b64 s[12:13], s[12:13], s[18:19]
	s_or_b64 exec, exec, s[14:15]
	v_mov_b32_e32 v5, s16
	s_and_saveexec_b64 s[14:15], s[12:13]
	s_cbranch_execnz .LBB21_794
	s_branch .LBB21_795
.LBB21_1010:
	s_or_saveexec_b64 s[12:13], s[12:13]
                                        ; implicit-def: $sgpr14
	s_xor_b64 exec, exec, s[12:13]
	s_cbranch_execz .LBB21_883
.LBB21_1011:
	s_mov_b32 s14, 0x42800000
	v_add_f32_e64 v4, |v22|, s14
	v_and_b32_e32 v4, 0xff, v4
	v_cmp_ne_u32_e32 vcc, 0, v4
	s_andn2_b64 s[10:11], s[10:11], exec
	s_and_b64 s[18:19], vcc, exec
	s_mov_b32 s14, 0
	s_or_b64 s[10:11], s[10:11], s[18:19]
	s_or_b64 exec, exec, s[12:13]
	v_mov_b32_e32 v5, s14
	s_and_saveexec_b64 s[12:13], s[10:11]
	s_cbranch_execnz .LBB21_884
	s_branch .LBB21_885
.LBB21_1012:
	s_mov_b64 s[8:9], 0
	s_or_b64 s[6:7], s[6:7], exec
	s_trap 2
	s_branch .LBB21_839
.LBB21_1013:
	s_or_saveexec_b64 s[10:11], s[10:11]
                                        ; implicit-def: $sgpr12
	s_xor_b64 exec, exec, s[10:11]
	s_cbranch_execz .LBB21_308
.LBB21_1014:
	s_mov_b32 s12, 0x42800000
	v_add_f32_e64 v1, |v0|, s12
	v_and_b32_e32 v1, 0xff, v1
	v_cmp_ne_u32_e32 vcc, 0, v1
	s_andn2_b64 s[8:9], s[8:9], exec
	s_and_b64 s[14:15], vcc, exec
	s_mov_b32 s12, 0
	s_or_b64 s[8:9], s[8:9], s[14:15]
	s_or_b64 exec, exec, s[10:11]
	v_mov_b32_e32 v4, s12
	s_and_saveexec_b64 s[10:11], s[8:9]
	s_cbranch_execnz .LBB21_309
	s_branch .LBB21_310
.LBB21_1015:
	s_or_saveexec_b64 s[10:11], s[10:11]
                                        ; implicit-def: $sgpr12
	s_xor_b64 exec, exec, s[10:11]
	s_cbranch_execz .LBB21_418
.LBB21_1016:
	s_mov_b32 s12, 0x46000000
	v_add_f32_e64 v1, |v0|, s12
	v_and_b32_e32 v1, 0xff, v1
	v_cmp_ne_u32_e32 vcc, 0, v1
	s_andn2_b64 s[8:9], s[8:9], exec
	s_and_b64 s[14:15], vcc, exec
	s_mov_b32 s12, 0
	s_or_b64 s[8:9], s[8:9], s[14:15]
	s_or_b64 exec, exec, s[10:11]
	v_mov_b32_e32 v5, s12
	s_and_saveexec_b64 s[10:11], s[8:9]
	s_cbranch_execnz .LBB21_419
	s_branch .LBB21_420
.LBB21_1017:
	s_or_saveexec_b64 s[12:13], s[12:13]
                                        ; implicit-def: $sgpr14
	s_xor_b64 exec, exec, s[12:13]
	s_cbranch_execz .LBB21_805
.LBB21_1018:
	s_mov_b32 s14, 0x42800000
	v_add_f32_e64 v1, |v0|, s14
	v_and_b32_e32 v1, 0xff, v1
	v_cmp_ne_u32_e32 vcc, 0, v1
	s_andn2_b64 s[10:11], s[10:11], exec
	s_and_b64 s[16:17], vcc, exec
	s_mov_b32 s14, 0
	s_or_b64 s[10:11], s[10:11], s[16:17]
	s_or_b64 exec, exec, s[12:13]
	v_mov_b32_e32 v5, s14
	s_and_saveexec_b64 s[12:13], s[10:11]
	s_cbranch_execnz .LBB21_806
	s_branch .LBB21_807
.LBB21_1019:
	s_or_saveexec_b64 s[12:13], s[12:13]
                                        ; implicit-def: $sgpr14
	s_xor_b64 exec, exec, s[12:13]
	s_cbranch_execz .LBB21_430
.LBB21_1020:
	s_mov_b32 s14, 0x42800000
	v_add_f32_e64 v1, |v0|, s14
	v_and_b32_e32 v1, 0xff, v1
	v_cmp_ne_u32_e32 vcc, 0, v1
	s_andn2_b64 s[10:11], s[10:11], exec
	s_and_b64 s[16:17], vcc, exec
	s_mov_b32 s14, 0
	s_or_b64 s[10:11], s[10:11], s[16:17]
	s_or_b64 exec, exec, s[12:13]
	v_mov_b32_e32 v5, s14
	s_and_saveexec_b64 s[12:13], s[10:11]
	s_cbranch_execnz .LBB21_431
	s_branch .LBB21_432
	.section	.rodata,"a",@progbits
	.p2align	6, 0x0
	.amdhsa_kernel _ZN2at6native32elementwise_kernel_manual_unrollILi128ELi4EZNS0_15gpu_kernel_implIZZZNS0_12_GLOBAL__N_119airy_ai_kernel_cudaERNS_18TensorIteratorBaseEENKUlvE_clEvENKUlvE0_clEvEUlfE_EEvS5_RKT_EUlibE_EEviT1_
		.amdhsa_group_segment_fixed_size 0
		.amdhsa_private_segment_fixed_size 0
		.amdhsa_kernarg_size 40
		.amdhsa_user_sgpr_count 8
		.amdhsa_user_sgpr_private_segment_buffer 1
		.amdhsa_user_sgpr_dispatch_ptr 0
		.amdhsa_user_sgpr_queue_ptr 0
		.amdhsa_user_sgpr_kernarg_segment_ptr 1
		.amdhsa_user_sgpr_dispatch_id 0
		.amdhsa_user_sgpr_flat_scratch_init 1
		.amdhsa_user_sgpr_kernarg_preload_length 0
		.amdhsa_user_sgpr_kernarg_preload_offset 0
		.amdhsa_user_sgpr_private_segment_size 0
		.amdhsa_uses_dynamic_stack 0
		.amdhsa_system_sgpr_private_segment_wavefront_offset 0
		.amdhsa_system_sgpr_workgroup_id_x 1
		.amdhsa_system_sgpr_workgroup_id_y 0
		.amdhsa_system_sgpr_workgroup_id_z 0
		.amdhsa_system_sgpr_workgroup_info 0
		.amdhsa_system_vgpr_workitem_id 0
		.amdhsa_next_free_vgpr 30
		.amdhsa_next_free_sgpr 56
		.amdhsa_accum_offset 32
		.amdhsa_reserve_vcc 1
		.amdhsa_reserve_flat_scratch 1
		.amdhsa_float_round_mode_32 0
		.amdhsa_float_round_mode_16_64 0
		.amdhsa_float_denorm_mode_32 3
		.amdhsa_float_denorm_mode_16_64 3
		.amdhsa_dx10_clamp 1
		.amdhsa_ieee_mode 1
		.amdhsa_fp16_overflow 0
		.amdhsa_tg_split 0
		.amdhsa_exception_fp_ieee_invalid_op 0
		.amdhsa_exception_fp_denorm_src 0
		.amdhsa_exception_fp_ieee_div_zero 0
		.amdhsa_exception_fp_ieee_overflow 0
		.amdhsa_exception_fp_ieee_underflow 0
		.amdhsa_exception_fp_ieee_inexact 0
		.amdhsa_exception_int_div_zero 0
	.end_amdhsa_kernel
	.section	.text._ZN2at6native32elementwise_kernel_manual_unrollILi128ELi4EZNS0_15gpu_kernel_implIZZZNS0_12_GLOBAL__N_119airy_ai_kernel_cudaERNS_18TensorIteratorBaseEENKUlvE_clEvENKUlvE0_clEvEUlfE_EEvS5_RKT_EUlibE_EEviT1_,"axG",@progbits,_ZN2at6native32elementwise_kernel_manual_unrollILi128ELi4EZNS0_15gpu_kernel_implIZZZNS0_12_GLOBAL__N_119airy_ai_kernel_cudaERNS_18TensorIteratorBaseEENKUlvE_clEvENKUlvE0_clEvEUlfE_EEvS5_RKT_EUlibE_EEviT1_,comdat
.Lfunc_end21:
	.size	_ZN2at6native32elementwise_kernel_manual_unrollILi128ELi4EZNS0_15gpu_kernel_implIZZZNS0_12_GLOBAL__N_119airy_ai_kernel_cudaERNS_18TensorIteratorBaseEENKUlvE_clEvENKUlvE0_clEvEUlfE_EEvS5_RKT_EUlibE_EEviT1_, .Lfunc_end21-_ZN2at6native32elementwise_kernel_manual_unrollILi128ELi4EZNS0_15gpu_kernel_implIZZZNS0_12_GLOBAL__N_119airy_ai_kernel_cudaERNS_18TensorIteratorBaseEENKUlvE_clEvENKUlvE0_clEvEUlfE_EEvS5_RKT_EUlibE_EEviT1_
                                        ; -- End function
	.section	.AMDGPU.csdata,"",@progbits
; Kernel info:
; codeLenInByte = 18804
; NumSgprs: 62
; NumVgprs: 30
; NumAgprs: 0
; TotalNumVgprs: 30
; ScratchSize: 0
; MemoryBound: 0
; FloatMode: 240
; IeeeMode: 1
; LDSByteSize: 0 bytes/workgroup (compile time only)
; SGPRBlocks: 7
; VGPRBlocks: 3
; NumSGPRsForWavesPerEU: 62
; NumVGPRsForWavesPerEU: 30
; AccumOffset: 32
; Occupancy: 8
; WaveLimiterHint : 0
; COMPUTE_PGM_RSRC2:SCRATCH_EN: 0
; COMPUTE_PGM_RSRC2:USER_SGPR: 8
; COMPUTE_PGM_RSRC2:TRAP_HANDLER: 0
; COMPUTE_PGM_RSRC2:TGID_X_EN: 1
; COMPUTE_PGM_RSRC2:TGID_Y_EN: 0
; COMPUTE_PGM_RSRC2:TGID_Z_EN: 0
; COMPUTE_PGM_RSRC2:TIDIG_COMP_CNT: 0
; COMPUTE_PGM_RSRC3_GFX90A:ACCUM_OFFSET: 7
; COMPUTE_PGM_RSRC3_GFX90A:TG_SPLIT: 0
	.text
	.p2align	2                               ; -- Begin function _ZN2at6native6invokeIZZZNS0_12_GLOBAL__N_119airy_ai_kernel_cudaERNS_18TensorIteratorBaseEENKUlvE_clEvENKUlvE0_clEvEUlfE_j15function_traitsIS7_EEENT1_11result_typeERKT_PrKPcPKT0_PKN3c1010ScalarTypeEi
	.type	_ZN2at6native6invokeIZZZNS0_12_GLOBAL__N_119airy_ai_kernel_cudaERNS_18TensorIteratorBaseEENKUlvE_clEvENKUlvE0_clEvEUlfE_j15function_traitsIS7_EEENT1_11result_typeERKT_PrKPcPKT0_PKN3c1010ScalarTypeEi,@function
_ZN2at6native6invokeIZZZNS0_12_GLOBAL__N_119airy_ai_kernel_cudaERNS_18TensorIteratorBaseEENKUlvE_clEvENKUlvE0_clEvEUlfE_j15function_traitsIS7_EEENT1_11result_typeERKT_PrKPcPKT0_PKN3c1010ScalarTypeEi: ; @_ZN2at6native6invokeIZZZNS0_12_GLOBAL__N_119airy_ai_kernel_cudaERNS_18TensorIteratorBaseEENKUlvE_clEvENKUlvE0_clEvEUlfE_j15function_traitsIS7_EEENT1_11result_typeERKT_PrKPcPKT0_PKN3c1010ScalarTypeEi
; %bb.0:
	s_waitcnt vmcnt(0) expcnt(0) lgkmcnt(0)
	v_add_co_u32_e32 v0, vcc, v0, v2
	v_mov_b32_e32 v2, 10
	v_addc_co_u32_e32 v1, vcc, 0, v1, vcc
	v_cmp_gt_i16_sdwa s[4:5], v3, v2 src0_sel:BYTE_0 src1_sel:DWORD
	s_mov_b64 s[6:7], 0
                                        ; implicit-def: $vgpr5
	s_and_saveexec_b64 s[8:9], s[4:5]
	s_xor_b64 s[4:5], exec, s[8:9]
	s_cbranch_execz .LBB22_53
; %bb.1:
	v_mov_b32_e32 v2, 25
	v_cmp_gt_i16_sdwa s[10:11], v3, v2 src0_sel:BYTE_0 src1_sel:DWORD
	s_mov_b64 s[12:13], 0
	s_mov_b64 s[8:9], 0
                                        ; implicit-def: $vgpr5
	s_and_saveexec_b64 s[14:15], s[10:11]
	s_xor_b64 s[10:11], exec, s[14:15]
	s_cbranch_execz .LBB22_96
; %bb.2:
	v_mov_b32_e32 v2, 28
	v_cmp_gt_i16_sdwa s[8:9], v3, v2 src0_sel:BYTE_0 src1_sel:DWORD
	s_mov_b64 s[14:15], 0
                                        ; implicit-def: $vgpr5
	s_and_saveexec_b64 s[16:17], s[8:9]
	s_xor_b64 s[8:9], exec, s[16:17]
	s_cbranch_execz .LBB22_18
; %bb.3:
	v_mov_b32_e32 v2, 43
	v_cmp_gt_i16_sdwa s[12:13], v3, v2 src0_sel:BYTE_0 src1_sel:DWORD
	s_mov_b64 s[16:17], 0
	s_mov_b64 s[18:19], 0
                                        ; implicit-def: $vgpr5
	s_and_saveexec_b64 s[14:15], s[12:13]
	s_xor_b64 s[12:13], exec, s[14:15]
	s_cbranch_execz .LBB22_13
; %bb.4:
	v_mov_b32_e32 v2, 45
	v_cmp_gt_i16_sdwa s[18:19], v3, v2 src0_sel:BYTE_0 src1_sel:DWORD
	s_mov_b64 s[14:15], 0
                                        ; implicit-def: $vgpr5
	s_and_saveexec_b64 s[20:21], s[18:19]
	s_xor_b64 s[18:19], exec, s[20:21]
	s_cbranch_execz .LBB22_8
; %bb.5:
	v_mov_b32_e32 v2, 46
	v_cmp_eq_u16_sdwa s[22:23], v3, v2 src0_sel:BYTE_0 src1_sel:DWORD
	s_mov_b64 s[20:21], -1
                                        ; implicit-def: $vgpr5
	s_and_saveexec_b64 s[16:17], s[22:23]
	s_cbranch_execz .LBB22_7
; %bb.6:
	flat_load_dword v2, v[0:1]
	s_mov_b64 s[14:15], exec
	s_xor_b64 s[20:21], exec, -1
	s_waitcnt vmcnt(0) lgkmcnt(0)
	v_lshlrev_b32_e32 v5, 16, v2
.LBB22_7:
	s_or_b64 exec, exec, s[16:17]
	s_and_b64 s[16:17], s[14:15], exec
	s_and_b64 s[14:15], s[20:21], exec
                                        ; implicit-def: $vgpr3
.LBB22_8:
	s_andn2_saveexec_b64 s[18:19], s[18:19]
	s_cbranch_execz .LBB22_12
; %bb.9:
	v_mov_b32_e32 v2, 44
	v_cmp_eq_u16_sdwa s[26:27], v3, v2 src0_sel:BYTE_0 src1_sel:DWORD
	s_mov_b64 s[24:25], -1
	s_mov_b64 s[22:23], s[16:17]
                                        ; implicit-def: $vgpr5
	s_and_saveexec_b64 s[20:21], s[26:27]
	s_cbranch_execz .LBB22_11
; %bb.10:
	flat_load_ubyte v2, v[0:1]
	s_movk_i32 s24, 0xff
	v_mov_b32_e32 v3, 0x7f800001
	v_mov_b32_e32 v4, 0x400000
	s_or_b64 s[22:23], s[16:17], exec
	s_waitcnt vmcnt(0) lgkmcnt(0)
	v_lshlrev_b32_e32 v5, 23, v2
	v_cmp_ne_u32_e32 vcc, s24, v2
	v_cndmask_b32_e32 v3, v3, v5, vcc
	v_cmp_ne_u32_e32 vcc, 0, v2
	v_cndmask_b32_e32 v5, v4, v3, vcc
	s_xor_b64 s[24:25], exec, -1
.LBB22_11:
	s_or_b64 exec, exec, s[20:21]
	s_andn2_b64 s[16:17], s[16:17], exec
	s_and_b64 s[20:21], s[22:23], exec
	s_or_b64 s[16:17], s[16:17], s[20:21]
	s_andn2_b64 s[14:15], s[14:15], exec
	s_and_b64 s[20:21], s[24:25], exec
	s_or_b64 s[14:15], s[14:15], s[20:21]
.LBB22_12:
	s_or_b64 exec, exec, s[18:19]
	s_and_b64 s[18:19], s[16:17], exec
	s_and_b64 s[16:17], s[14:15], exec
                                        ; implicit-def: $vgpr3
.LBB22_13:
	s_andn2_saveexec_b64 s[12:13], s[12:13]
	s_cbranch_execz .LBB22_17
; %bb.14:
	v_mov_b32_e32 v2, 29
	v_cmp_eq_u16_sdwa s[24:25], v3, v2 src0_sel:BYTE_0 src1_sel:DWORD
	s_mov_b64 s[20:21], -1
	s_mov_b64 s[22:23], s[18:19]
                                        ; implicit-def: $vgpr5
	s_and_saveexec_b64 s[14:15], s[24:25]
	s_cbranch_execz .LBB22_16
; %bb.15:
	flat_load_dwordx2 v[2:3], v[0:1]
	s_or_b64 s[22:23], s[18:19], exec
	s_xor_b64 s[20:21], exec, -1
	s_waitcnt vmcnt(0) lgkmcnt(0)
	v_ffbh_u32_e32 v4, v3
	v_min_u32_e32 v4, 32, v4
	v_lshlrev_b64 v[2:3], v4, v[2:3]
	v_min_u32_e32 v2, 1, v2
	v_or_b32_e32 v2, v3, v2
	v_cvt_f32_u32_e32 v2, v2
	v_sub_u32_e32 v3, 32, v4
	v_ldexp_f32 v5, v2, v3
.LBB22_16:
	s_or_b64 exec, exec, s[14:15]
	s_andn2_b64 s[14:15], s[18:19], exec
	s_and_b64 s[18:19], s[22:23], exec
	s_or_b64 s[18:19], s[14:15], s[18:19]
	s_andn2_b64 s[14:15], s[16:17], exec
	s_and_b64 s[16:17], s[20:21], exec
	s_or_b64 s[16:17], s[14:15], s[16:17]
.LBB22_17:
	s_or_b64 exec, exec, s[12:13]
	s_and_b64 s[14:15], s[18:19], exec
	s_and_b64 s[12:13], s[16:17], exec
                                        ; implicit-def: $vgpr3
.LBB22_18:
	s_andn2_saveexec_b64 s[8:9], s[8:9]
	s_cbranch_execz .LBB22_34
; %bb.19:
	v_mov_b32_e32 v2, 26
	v_cmp_gt_i16_sdwa s[16:17], v3, v2 src0_sel:BYTE_0 src1_sel:DWORD
                                        ; implicit-def: $vgpr5
	s_and_saveexec_b64 s[18:19], s[16:17]
	s_xor_b64 s[16:17], exec, s[18:19]
	s_cbranch_execz .LBB22_25
; %bb.20:
	v_mov_b32_e32 v2, 27
	v_cmp_gt_i16_sdwa s[18:19], v3, v2 src0_sel:BYTE_0 src1_sel:DWORD
                                        ; implicit-def: $vgpr5
	s_and_saveexec_b64 s[20:21], s[18:19]
	s_xor_b64 s[18:19], exec, s[20:21]
	s_cbranch_execz .LBB22_22
; %bb.21:
	flat_load_dword v2, v[0:1]
	s_waitcnt vmcnt(0) lgkmcnt(0)
	v_cvt_f32_u32_e32 v5, v2
.LBB22_22:
	s_andn2_saveexec_b64 s[18:19], s[18:19]
	s_cbranch_execz .LBB22_24
; %bb.23:
	flat_load_ushort v2, v[0:1]
	s_waitcnt vmcnt(0) lgkmcnt(0)
	v_cvt_f32_u32_e32 v5, v2
.LBB22_24:
	s_or_b64 exec, exec, s[18:19]
.LBB22_25:
	s_andn2_saveexec_b64 s[16:17], s[16:17]
	s_cbranch_execz .LBB22_33
; %bb.26:
	flat_load_ubyte v2, v[0:1]
	s_movk_i32 s18, 0x7f
                                        ; implicit-def: $sgpr24
	s_waitcnt vmcnt(0) lgkmcnt(0)
	v_cmp_lt_i16_e32 vcc, s18, v2
	s_mov_b64 s[18:19], 0
	s_and_saveexec_b64 s[20:21], vcc
	s_xor_b64 s[20:21], exec, s[20:21]
	s_cbranch_execz .LBB22_123
; %bb.27:
	s_movk_i32 s18, 0x80
	v_cmp_eq_u16_e32 vcc, s18, v2
	s_mov_b64 s[18:19], -1
                                        ; implicit-def: $sgpr24
	s_and_saveexec_b64 s[22:23], vcc
; %bb.28:
	s_mov_b32 s24, 0x7f800001
	s_xor_b64 s[18:19], exec, -1
; %bb.29:
	s_or_b64 exec, exec, s[22:23]
	s_and_b64 s[18:19], s[18:19], exec
	s_or_saveexec_b64 s[20:21], s[20:21]
	v_mov_b32_e32 v5, s24
	s_xor_b64 exec, exec, s[20:21]
	s_cbranch_execnz .LBB22_124
.LBB22_30:
	s_or_b64 exec, exec, s[20:21]
	s_and_saveexec_b64 s[20:21], s[18:19]
	s_cbranch_execz .LBB22_32
.LBB22_31:
	v_lshlrev_b32_e32 v3, 24, v2
	v_and_b32_e32 v2, 0xffff, v2
	v_and_b32_e32 v4, 7, v2
	v_ffbh_u32_e32 v6, v4
	v_min_u32_e32 v6, 32, v6
	v_subrev_u32_e32 v7, 28, v6
	v_bfe_u32 v5, v2, 3, 4
	v_lshlrev_b32_e32 v2, v7, v2
	v_sub_u32_e32 v6, 29, v6
	v_and_b32_e32 v2, 7, v2
	v_cmp_eq_u32_e32 vcc, 0, v5
	v_cndmask_b32_e32 v5, v5, v6, vcc
	v_cndmask_b32_e32 v2, v4, v2, vcc
	v_mov_b32_e32 v4, 0x3b800000
	v_lshlrev_b32_e32 v2, 20, v2
	v_and_b32_e32 v3, 0x80000000, v3
	v_lshl_add_u32 v4, v5, 23, v4
	v_or3_b32 v5, v3, v4, v2
.LBB22_32:
	s_or_b64 exec, exec, s[20:21]
.LBB22_33:
	s_or_b64 exec, exec, s[16:17]
	s_or_b64 s[14:15], s[14:15], exec
.LBB22_34:
	s_or_b64 exec, exec, s[8:9]
	s_and_b64 s[8:9], s[14:15], exec
	s_and_b64 s[12:13], s[12:13], exec
                                        ; implicit-def: $vgpr3
	s_andn2_saveexec_b64 s[10:11], s[10:11]
	s_cbranch_execnz .LBB22_97
.LBB22_35:
	s_or_b64 exec, exec, s[10:11]
	s_and_saveexec_b64 s[10:11], s[12:13]
	s_cbranch_execnz .LBB22_122
.LBB22_36:
	s_or_b64 exec, exec, s[10:11]
	s_and_saveexec_b64 s[10:11], s[6:7]
	s_xor_b64 s[6:7], exec, s[10:11]
	s_cbranch_execz .LBB22_38
.LBB22_37:
	flat_load_ubyte v0, v[0:1]
	s_or_b64 s[8:9], s[8:9], exec
	s_waitcnt vmcnt(0) lgkmcnt(0)
	v_cmp_ne_u16_e32 vcc, 0, v0
	v_cndmask_b32_e64 v5, 0, 1.0, vcc
.LBB22_38:
	s_or_b64 exec, exec, s[6:7]
	s_and_b64 s[6:7], s[8:9], exec
                                        ; implicit-def: $vgpr3
                                        ; implicit-def: $vgpr0_vgpr1
	s_andn2_saveexec_b64 s[4:5], s[4:5]
	s_cbranch_execnz .LBB22_54
.LBB22_39:
	s_or_b64 exec, exec, s[4:5]
                                        ; implicit-def: $vgpr0
	s_and_saveexec_b64 s[10:11], s[6:7]
	s_cbranch_execz .LBB22_95
.LBB22_40:
	s_mov_b32 s4, 0x7f800000
	s_waitcnt vmcnt(0) lgkmcnt(0)
	v_cmp_neq_f32_e64 s[4:5], |v5|, s4
	v_mov_b32_e32 v0, 0x7fc00000
	s_and_saveexec_b64 s[12:13], s[4:5]
	s_cbranch_execz .LBB22_134
; %bb.41:
	s_mov_b32 s4, 0x42cfc8b4
	v_cmp_nlt_f32_e32 vcc, s4, v5
	v_mov_b32_e32 v0, 0
	s_and_saveexec_b64 s[14:15], vcc
	s_cbranch_execz .LBB22_133
; %bb.42:
	s_mov_b32 s4, 0xc005c28f
	v_cmp_ngt_f32_e32 vcc, s4, v5
                                        ; implicit-def: $vgpr0
	s_and_saveexec_b64 s[4:5], vcc
	s_xor_b64 s[6:7], exec, s[4:5]
	s_cbranch_execz .LBB22_50
; %bb.43:
	s_mov_b32 s4, 0x4005c28f
	v_cmp_nle_f32_e64 s[8:9], s4, v5
	v_cmp_le_f32_e32 vcc, s4, v5
	v_mov_b32_e32 v0, 0
	s_mov_b64 s[4:5], s[8:9]
	s_and_saveexec_b64 s[16:17], vcc
	s_cbranch_execz .LBB22_45
; %bb.44:
	s_mov_b32 s18, 0xf800000
	v_mul_f32_e32 v0, 0x4f800000, v5
	v_cmp_gt_f32_e32 vcc, s18, v5
	v_cndmask_b32_e32 v0, v5, v0, vcc
	v_sqrt_f32_e32 v1, v0
	v_add_f32_e32 v2, v5, v5
	s_mov_b32 s19, 0x40400000
	v_add_u32_e32 v3, -1, v1
	v_fma_f32 v4, -v3, v1, v0
	v_cmp_ge_f32_e64 s[4:5], 0, v4
	v_add_u32_e32 v4, 1, v1
	v_cndmask_b32_e64 v3, v1, v3, s[4:5]
	v_fma_f32 v1, -v4, v1, v0
	v_cmp_lt_f32_e64 s[4:5], 0, v1
	v_cndmask_b32_e64 v1, v3, v4, s[4:5]
	v_mul_f32_e32 v3, 0x37800000, v1
	v_cndmask_b32_e32 v1, v1, v3, vcc
	v_mov_b32_e32 v3, 0x260
	v_cmp_class_f32_e32 vcc, v0, v3
	v_cndmask_b32_e32 v0, v1, v0, vcc
	v_mul_f32_e32 v1, v2, v0
	v_div_scale_f32 v2, s[4:5], s19, s19, v1
	v_rcp_f32_e32 v4, v2
	v_fma_f32 v6, -v2, v4, 1.0
	v_fmac_f32_e32 v4, v6, v4
	v_div_scale_f32 v6, vcc, v1, s19, v1
	v_mul_f32_e32 v7, v6, v4
	v_fma_f32 v8, -v2, v7, v6
	v_fmac_f32_e32 v7, v8, v4
	v_fma_f32 v2, -v2, v7, v6
	v_div_fmas_f32 v2, v2, v4, v7
	v_div_fixup_f32 v2, v2, s19, v1
	v_div_scale_f32 v1, s[4:5], v2, v2, 1.0
	v_rcp_f32_e32 v4, v1
	v_fma_f32 v6, -v1, v4, 1.0
	v_fmac_f32_e32 v4, v6, v4
	v_div_scale_f32 v6, vcc, 1.0, v2, 1.0
	v_mul_f32_e32 v7, v6, v4
	v_fma_f32 v8, -v1, v7, v6
	v_fmac_f32_e32 v7, v8, v4
	v_fma_f32 v1, -v1, v7, v6
	v_div_fmas_f32 v1, v1, v4, v7
	v_div_fixup_f32 v1, v1, v2, 1.0
	v_mov_b32_e32 v4, 0x3eb16d71
	v_fmac_f32_e32 v4, 0, v1
	v_mov_b32_e32 v6, 0x41401f1c
	v_fmac_f32_e32 v6, v1, v4
	;; [unrolled: 2-line block ×14, first 2 shown]
	v_fma_f32 v6, v1, v6, 1.0
	v_fma_f32 v1, v1, v4, 1.0
	v_div_scale_f32 v4, s[4:5], v6, v6, v1
	v_rcp_f32_e32 v7, v4
	v_cmp_gt_f32_e64 s[4:5], s18, v0
	v_fma_f32 v8, -v4, v7, 1.0
	v_fmac_f32_e32 v7, v8, v7
	v_div_scale_f32 v8, vcc, v1, v6, v1
	v_mul_f32_e32 v9, v8, v7
	v_fma_f32 v10, -v4, v9, v8
	v_fmac_f32_e32 v9, v10, v7
	v_fma_f32 v4, -v4, v9, v8
	v_mul_f32_e32 v8, 0x4f800000, v0
	v_cndmask_b32_e64 v8, v0, v8, s[4:5]
	v_sqrt_f32_e32 v10, v8
	v_div_fmas_f32 v0, v4, v7, v9
	v_div_fixup_f32 v0, v0, v6, v1
	v_add_u32_e32 v1, -1, v10
	v_fma_f32 v4, -v1, v10, v8
	v_cmp_ge_f32_e32 vcc, 0, v4
	v_add_u32_e32 v4, 1, v10
	v_fma_f32 v6, -v4, v10, v8
	v_cndmask_b32_e32 v1, v10, v1, vcc
	v_cmp_lt_f32_e32 vcc, 0, v6
	v_cndmask_b32_e32 v1, v1, v4, vcc
	v_mul_f32_e32 v4, 0x37800000, v1
	v_cndmask_b32_e64 v1, v1, v4, s[4:5]
	v_cmp_class_f32_e32 vcc, v8, v3
	s_mov_b32 s4, 0x3fb8aa3b
	v_mul_f32_e32 v3, 0x3fb8aa3b, v2
	v_fma_f32 v4, v2, s4, -v3
	v_rndne_f32_e32 v6, v3
	v_fmac_f32_e32 v4, 0x32a5705f, v2
	v_sub_f32_e32 v3, v3, v6
	v_add_f32_e32 v3, v3, v4
	v_exp_f32_e32 v3, v3
	v_cvt_i32_f32_e32 v4, v6
	s_mov_b32 s4, 0x3f106ebb
	v_cndmask_b32_e32 v1, v1, v8, vcc
	s_mov_b32 s5, 2.0
	v_pk_mul_f32 v[0:1], v[0:1], s[4:5]
	s_mov_b32 s4, 0xc2ce8ed0
	v_ldexp_f32 v3, v3, v4
	v_cmp_ngt_f32_e32 vcc, s4, v2
	s_mov_b32 s4, 0x42b17218
	v_cndmask_b32_e32 v3, 0, v3, vcc
	v_mov_b32_e32 v4, 0x7f800000
	v_cmp_nlt_f32_e32 vcc, s4, v2
	v_cndmask_b32_e32 v2, v4, v3, vcc
	v_mul_f32_e32 v1, v1, v2
	v_div_scale_f32 v2, s[4:5], v1, v1, v0
	v_rcp_f32_e32 v3, v2
	s_mov_b32 s4, 0x41052018
	v_fma_f32 v4, -v2, v3, 1.0
	v_fmac_f32_e32 v3, v4, v3
	v_div_scale_f32 v4, vcc, v0, v1, v0
	v_mul_f32_e32 v6, v4, v3
	v_fma_f32 v7, -v2, v6, v4
	v_fmac_f32_e32 v6, v7, v3
	v_fma_f32 v2, -v2, v6, v4
	v_div_fmas_f32 v2, v2, v3, v6
	v_cmp_nlt_f32_e32 vcc, s4, v5
	s_andn2_b64 s[4:5], s[8:9], exec
	s_and_b64 s[18:19], vcc, exec
	v_div_fixup_f32 v0, v2, v1, v0
	s_or_b64 s[4:5], s[4:5], s[18:19]
.LBB22_45:
	s_or_b64 exec, exec, s[16:17]
	s_and_saveexec_b64 s[16:17], s[4:5]
	s_cbranch_execz .LBB22_49
; %bb.46:
	v_mul_f32_e32 v1, v5, v5
	v_mul_f32_e32 v2, v5, v1
	v_mov_b32_e32 v1, 1.0
	v_mov_b32_e32 v3, v2
	s_mov_b64 s[18:19], 0
	s_brev_b32 s20, 44
	v_mov_b32_e32 v4, v1
	v_mov_b32_e32 v6, 1.0
	v_mov_b32_e32 v7, v5
.LBB22_47:                              ; =>This Inner Loop Header: Depth=1
	v_pk_mul_f32 v[6:7], v[2:3], v[6:7]
	v_add_f32_e32 v8, 1.0, v1
	v_add_f32_e32 v9, 1.0, v8
	v_div_scale_f32 v10, s[4:5], v8, v8, v6
	v_rcp_f32_e32 v12, v10
	v_div_scale_f32 v13, s[4:5], v9, v9, v7
	v_rcp_f32_e32 v15, v13
	v_fma_f32 v16, -v10, v12, 1.0
	v_div_scale_f32 v11, vcc, v6, v8, v6
	v_fmac_f32_e32 v12, v16, v12
	v_fma_f32 v16, -v13, v15, 1.0
	v_div_scale_f32 v14, s[4:5], v7, v9, v7
	v_mul_f32_e32 v17, v11, v12
	v_fmac_f32_e32 v15, v16, v15
	v_fma_f32 v16, -v10, v17, v11
	v_mul_f32_e32 v18, v14, v15
	v_fmac_f32_e32 v17, v16, v12
	v_fma_f32 v16, -v13, v18, v14
	v_fma_f32 v10, -v10, v17, v11
	v_fmac_f32_e32 v18, v16, v15
	v_div_fmas_f32 v10, v10, v12, v17
	v_fma_f32 v11, -v13, v18, v14
	s_mov_b64 vcc, s[4:5]
	v_div_fixup_f32 v6, v10, v8, v6
	v_div_fmas_f32 v8, v11, v15, v18
	v_add_f32_e32 v1, 1.0, v9
	v_div_fixup_f32 v7, v8, v9, v7
	v_div_scale_f32 v8, s[4:5], v9, v9, v6
	v_div_scale_f32 v11, s[22:23], v1, v1, v7
	v_rcp_f32_e32 v13, v8
	v_rcp_f32_e32 v14, v11
	v_div_scale_f32 v10, s[4:5], v6, v9, v6
	v_fma_f32 v15, -v8, v13, 1.0
	v_fma_f32 v16, -v11, v14, 1.0
	v_div_scale_f32 v12, vcc, v7, v1, v7
	v_fmac_f32_e32 v13, v15, v13
	v_fmac_f32_e32 v14, v16, v14
	v_mul_f32_e32 v15, v10, v13
	v_mul_f32_e32 v16, v12, v14
	v_fma_f32 v17, -v8, v15, v10
	v_fma_f32 v18, -v11, v16, v12
	v_fmac_f32_e32 v15, v17, v13
	v_fmac_f32_e32 v16, v18, v14
	v_fma_f32 v8, -v8, v15, v10
	v_fma_f32 v10, -v11, v16, v12
	v_div_fmas_f32 v10, v10, v14, v16
	s_mov_b64 vcc, s[4:5]
	v_div_fmas_f32 v8, v8, v13, v15
	v_div_fixup_f32 v7, v10, v1, v7
	v_div_fixup_f32 v6, v8, v9, v6
	v_pk_add_f32 v[4:5], v[4:5], v[6:7]
	v_div_scale_f32 v8, s[4:5], v4, v4, v6
	v_rcp_f32_e32 v9, v8
	v_div_scale_f32 v10, vcc, v6, v4, v6
	v_fma_f32 v11, -v8, v9, 1.0
	v_fmac_f32_e32 v9, v11, v9
	v_mul_f32_e32 v11, v10, v9
	v_fma_f32 v12, -v8, v11, v10
	v_fmac_f32_e32 v11, v12, v9
	v_fma_f32 v8, -v8, v11, v10
	v_div_fmas_f32 v8, v8, v9, v11
	v_div_fixup_f32 v8, v8, v4, v6
	v_cmp_ngt_f32_e64 s[4:5], |v8|, s20
	s_or_b64 s[18:19], s[4:5], s[18:19]
	s_andn2_b64 exec, exec, s[18:19]
	s_cbranch_execnz .LBB22_47
; %bb.48:
	s_or_b64 exec, exec, s[18:19]
	s_mov_b32 s4, 0x3eb5c63d
	s_mov_b32 s5, 0x3e8483fa
	v_pk_mul_f32 v[2:3], v[4:5], s[4:5]
	v_sub_f32_e32 v1, v2, v3
	v_cndmask_b32_e64 v0, v0, v1, s[8:9]
.LBB22_49:
	s_or_b64 exec, exec, s[16:17]
                                        ; implicit-def: $vgpr5
.LBB22_50:
	s_andn2_saveexec_b64 s[16:17], s[6:7]
	s_cbranch_execz .LBB22_132
; %bb.51:
	s_mov_b32 s4, 0x8f800000
	v_mul_f32_e32 v0, 0xcf800000, v5
	v_cmp_lt_f32_e32 vcc, s4, v5
	v_cndmask_b32_e64 v0, -v5, v0, vcc
	v_sqrt_f32_e32 v1, v0
	v_mul_f32_e32 v2, -2.0, v5
	s_mov_b32 s6, 0x40400000
	v_add_u32_e32 v3, -1, v1
	v_fma_f32 v4, -v3, v1, v0
	v_cmp_ge_f32_e64 s[4:5], 0, v4
	v_add_u32_e32 v4, 1, v1
	v_cndmask_b32_e64 v3, v1, v3, s[4:5]
	v_fma_f32 v1, -v4, v1, v0
	v_cmp_lt_f32_e64 s[4:5], 0, v1
	v_cndmask_b32_e64 v1, v3, v4, s[4:5]
	v_mul_f32_e32 v3, 0x37800000, v1
	v_cndmask_b32_e32 v1, v1, v3, vcc
	v_mov_b32_e32 v3, 0x260
	v_cmp_class_f32_e32 vcc, v0, v3
	v_cndmask_b32_e32 v0, v1, v0, vcc
	v_mul_f32_e32 v1, v2, v0
	v_div_scale_f32 v2, s[4:5], s6, s6, v1
	v_rcp_f32_e32 v3, v2
	s_brev_b32 s4, 18
	v_fma_f32 v4, -v2, v3, 1.0
	v_fmac_f32_e32 v3, v4, v3
	v_div_scale_f32 v4, vcc, v1, s6, v1
	v_mul_f32_e32 v5, v4, v3
	v_fma_f32 v6, -v2, v5, v4
	v_fmac_f32_e32 v5, v6, v3
	v_fma_f32 v2, -v2, v5, v4
	v_div_fmas_f32 v2, v2, v3, v5
	v_div_fixup_f32 v3, v2, s6, v1
	v_add_f32_e32 v1, 0x3f490fdb, v3
	v_and_b32_e32 v2, 0x7fffffff, v1
	v_cmp_nlt_f32_e64 s[18:19], |v1|, s4
	v_lshrrev_b32_e32 v8, 23, v2
                                        ; implicit-def: $vgpr4
                                        ; implicit-def: $vgpr5
	s_and_saveexec_b64 s[4:5], s[18:19]
	s_xor_b64 s[20:21], exec, s[4:5]
	s_cbranch_execz .LBB22_125
; %bb.52:
	v_add_u32_e32 v4, 0xffffff88, v8
	v_not_b32_e32 v6, 63
	v_cmp_lt_u32_e32 vcc, 63, v4
	v_cndmask_b32_e32 v6, 0, v6, vcc
	v_add_u32_e32 v4, v6, v4
	v_not_b32_e32 v6, 31
	v_cmp_lt_u32_e64 s[4:5], 31, v4
	v_cndmask_b32_e64 v7, 0, v6, s[4:5]
	v_add_u32_e32 v4, v7, v4
	v_cmp_lt_u32_e64 s[6:7], 31, v4
	v_cndmask_b32_e64 v6, 0, v6, s[6:7]
	v_add_u32_e32 v9, v6, v4
	v_and_b32_e32 v4, 0x7fffff, v2
	v_or_b32_e32 v20, 0x800000, v4
	s_mov_b32 s8, 0xfe5163ab
	v_mad_u64_u32 v[6:7], s[8:9], v20, s8, 0
	v_mov_b32_e32 v5, 0
	v_mov_b32_e32 v4, v7
	s_mov_b32 s8, 0x3c439041
	v_mad_u64_u32 v[10:11], s[8:9], v20, s8, v[4:5]
	v_mov_b32_e32 v4, v11
	s_mov_b32 s8, 0xdb629599
	v_mad_u64_u32 v[12:13], s[8:9], v20, s8, v[4:5]
	;; [unrolled: 3-line block ×6, first 2 shown]
	v_cndmask_b32_e32 v7, v18, v14, vcc
	v_cndmask_b32_e32 v4, v4, v16, vcc
	v_cndmask_b32_e32 v5, v5, v18, vcc
	v_cndmask_b32_e64 v11, v4, v7, s[4:5]
	v_cndmask_b32_e64 v4, v5, v4, s[4:5]
	v_cndmask_b32_e32 v5, v16, v12, vcc
	v_cndmask_b32_e64 v7, v7, v5, s[4:5]
	v_sub_u32_e32 v13, 32, v9
	v_cmp_eq_u32_e64 s[8:9], 0, v9
	v_cndmask_b32_e32 v9, v14, v10, vcc
	v_cndmask_b32_e64 v4, v4, v11, s[6:7]
	v_cndmask_b32_e64 v11, v11, v7, s[6:7]
	;; [unrolled: 1-line block ×3, first 2 shown]
	v_alignbit_b32 v15, v4, v11, v13
	v_cndmask_b32_e64 v7, v7, v5, s[6:7]
	v_cndmask_b32_e64 v4, v15, v4, s[8:9]
	v_alignbit_b32 v10, v11, v7, v13
	v_cndmask_b32_e64 v10, v10, v11, s[8:9]
	v_bfe_u32 v15, v4, 29, 1
	v_cndmask_b32_e32 v6, v12, v6, vcc
	v_alignbit_b32 v11, v4, v10, 30
	v_sub_u32_e32 v16, 0, v15
	v_cndmask_b32_e64 v6, v9, v6, s[4:5]
	v_xor_b32_e32 v17, v11, v16
	v_cndmask_b32_e64 v5, v5, v6, s[6:7]
	v_alignbit_b32 v6, v7, v5, v13
	v_ffbh_u32_e32 v9, v17
	v_cndmask_b32_e64 v6, v6, v7, s[8:9]
	v_add_u32_e32 v9, 1, v9
	v_cmp_ne_u32_e32 vcc, v11, v16
	v_alignbit_b32 v7, v10, v6, 30
	v_cndmask_b32_e32 v9, 33, v9, vcc
	v_alignbit_b32 v5, v6, v5, 30
	v_xor_b32_e32 v7, v7, v16
	v_sub_u32_e32 v10, 32, v9
	v_xor_b32_e32 v5, v5, v16
	v_alignbit_b32 v11, v17, v7, v10
	v_alignbit_b32 v5, v7, v5, v10
	;; [unrolled: 1-line block ×3, first 2 shown]
	v_ffbh_u32_e32 v7, v6
	v_min_u32_e32 v7, 32, v7
	v_lshrrev_b32_e32 v14, 29, v4
	v_sub_u32_e32 v10, 31, v7
	v_alignbit_b32 v5, v6, v5, v10
	v_lshlrev_b32_e32 v6, 31, v14
	v_or_b32_e32 v10, 0x33800000, v6
	v_add_lshl_u32 v7, v7, v9, 23
	v_lshrrev_b32_e32 v5, 9, v5
	v_sub_u32_e32 v7, v10, v7
	v_or_b32_e32 v5, v7, v5
	v_alignbit_b32 v7, v9, v11, 9
	v_or_b32_e32 v6, v7, v6
	v_xor_b32_e32 v6, 1.0, v6
	s_mov_b32 s4, 0x3fc90fda
	v_mul_f32_e32 v7, 0x3fc90fda, v6
	v_fma_f32 v9, v6, s4, -v7
	v_fmac_f32_e32 v9, 0x33a22168, v6
	v_fmac_f32_e32 v9, 0x3fc90fda, v5
	v_lshrrev_b32_e32 v4, 30, v4
	v_add_f32_e32 v5, v7, v9
	v_add_u32_e32 v4, v15, v4
	s_andn2_saveexec_b64 s[4:5], s[20:21]
	s_branch .LBB22_126
.LBB22_53:
	s_andn2_saveexec_b64 s[4:5], s[4:5]
	s_cbranch_execz .LBB22_39
.LBB22_54:
	v_mov_b32_e32 v2, 4
	v_cmp_gt_i16_sdwa s[8:9], v3, v2 src0_sel:BYTE_0 src1_sel:DWORD
                                        ; implicit-def: $vgpr5
	s_and_saveexec_b64 s[10:11], s[8:9]
	s_xor_b64 s[8:9], exec, s[10:11]
	s_cbranch_execz .LBB22_76
; %bb.55:
	v_mov_b32_e32 v2, 7
	v_cmp_gt_i16_sdwa s[10:11], v3, v2 src0_sel:BYTE_0 src1_sel:DWORD
                                        ; implicit-def: $vgpr5
	s_and_saveexec_b64 s[12:13], s[10:11]
	s_xor_b64 s[10:11], exec, s[12:13]
	s_cbranch_execz .LBB22_65
; %bb.56:
	v_mov_b32_e32 v2, 8
	v_cmp_gt_i16_sdwa s[12:13], v3, v2 src0_sel:BYTE_0 src1_sel:DWORD
                                        ; implicit-def: $vgpr5
	s_and_saveexec_b64 s[14:15], s[12:13]
	s_xor_b64 s[12:13], exec, s[14:15]
	s_cbranch_execz .LBB22_62
; %bb.57:
	v_mov_b32_e32 v2, 9
	v_cmp_gt_i16_sdwa s[14:15], v3, v2 src0_sel:BYTE_0 src1_sel:DWORD
                                        ; implicit-def: $vgpr5
	s_and_saveexec_b64 s[16:17], s[14:15]
	s_xor_b64 s[14:15], exec, s[16:17]
	s_cbranch_execz .LBB22_59
; %bb.58:
	flat_load_dwordx2 v[0:1], v[0:1]
	s_waitcnt vmcnt(0) lgkmcnt(0)
	v_cvt_f32_f64_e32 v5, v[0:1]
                                        ; implicit-def: $vgpr0_vgpr1
.LBB22_59:
	s_andn2_saveexec_b64 s[14:15], s[14:15]
	s_cbranch_execz .LBB22_61
; %bb.60:
	flat_load_dword v5, v[0:1]
.LBB22_61:
	s_or_b64 exec, exec, s[14:15]
                                        ; implicit-def: $vgpr0_vgpr1
.LBB22_62:
	s_andn2_saveexec_b64 s[12:13], s[12:13]
	s_cbranch_execz .LBB22_64
; %bb.63:
	flat_load_dword v0, v[0:1]
	s_waitcnt vmcnt(0) lgkmcnt(0)
	v_cvt_f32_f16_e32 v5, v0
.LBB22_64:
	s_or_b64 exec, exec, s[12:13]
                                        ; implicit-def: $vgpr0_vgpr1
                                        ; implicit-def: $vgpr3
.LBB22_65:
	s_andn2_saveexec_b64 s[10:11], s[10:11]
	s_cbranch_execz .LBB22_75
; %bb.66:
	v_mov_b32_e32 v2, 5
	v_cmp_gt_i16_sdwa s[12:13], v3, v2 src0_sel:BYTE_0 src1_sel:DWORD
                                        ; implicit-def: $vgpr5
	s_and_saveexec_b64 s[14:15], s[12:13]
	s_xor_b64 s[12:13], exec, s[14:15]
	s_cbranch_execz .LBB22_72
; %bb.67:
	v_mov_b32_e32 v2, 6
	v_cmp_gt_i16_sdwa s[14:15], v3, v2 src0_sel:BYTE_0 src1_sel:DWORD
                                        ; implicit-def: $vgpr5
	s_and_saveexec_b64 s[16:17], s[14:15]
	s_xor_b64 s[14:15], exec, s[16:17]
	s_cbranch_execz .LBB22_69
; %bb.68:
	flat_load_dwordx2 v[0:1], v[0:1]
	s_waitcnt vmcnt(0) lgkmcnt(0)
	v_cvt_f32_f64_e32 v5, v[0:1]
                                        ; implicit-def: $vgpr0_vgpr1
.LBB22_69:
	s_andn2_saveexec_b64 s[14:15], s[14:15]
	s_cbranch_execz .LBB22_71
; %bb.70:
	s_waitcnt vmcnt(0) lgkmcnt(0)
	flat_load_dword v5, v[0:1]
.LBB22_71:
	s_or_b64 exec, exec, s[14:15]
                                        ; implicit-def: $vgpr0_vgpr1
.LBB22_72:
	s_andn2_saveexec_b64 s[12:13], s[12:13]
	s_cbranch_execz .LBB22_74
; %bb.73:
	flat_load_ushort v0, v[0:1]
	s_waitcnt vmcnt(0) lgkmcnt(0)
	v_cvt_f32_f16_e32 v5, v0
.LBB22_74:
	s_or_b64 exec, exec, s[12:13]
.LBB22_75:
	s_or_b64 exec, exec, s[10:11]
                                        ; implicit-def: $vgpr3
                                        ; implicit-def: $vgpr0_vgpr1
.LBB22_76:
	s_andn2_saveexec_b64 s[8:9], s[8:9]
	s_cbranch_execz .LBB22_94
; %bb.77:
	v_mov_b32_e32 v2, 1
	v_cmp_gt_i16_sdwa s[10:11], v3, v2 src0_sel:BYTE_0 src1_sel:DWORD
                                        ; implicit-def: $vgpr5
	s_and_saveexec_b64 s[12:13], s[10:11]
	s_xor_b64 s[10:11], exec, s[12:13]
	s_cbranch_execz .LBB22_87
; %bb.78:
	v_mov_b32_e32 v2, 2
	v_cmp_gt_i16_sdwa s[12:13], v3, v2 src0_sel:BYTE_0 src1_sel:DWORD
                                        ; implicit-def: $vgpr5
	s_and_saveexec_b64 s[14:15], s[12:13]
	s_xor_b64 s[12:13], exec, s[14:15]
	;; [unrolled: 7-line block ×3, first 2 shown]
	s_cbranch_execz .LBB22_81
; %bb.80:
	flat_load_dwordx2 v[0:1], v[0:1]
	s_waitcnt vmcnt(0) lgkmcnt(0)
	v_xor_b32_e32 v3, v0, v1
	v_ffbh_i32_e32 v2, v1
	v_ashrrev_i32_e32 v3, 31, v3
	v_add_u32_e32 v2, -1, v2
	v_add_u32_e32 v3, 32, v3
	v_min_u32_e32 v2, v2, v3
	v_lshlrev_b64 v[0:1], v2, v[0:1]
	v_min_u32_e32 v0, 1, v0
	v_or_b32_e32 v0, v1, v0
	v_cvt_f32_i32_e32 v0, v0
	v_sub_u32_e32 v1, 32, v2
	v_ldexp_f32 v5, v0, v1
                                        ; implicit-def: $vgpr0_vgpr1
.LBB22_81:
	s_andn2_saveexec_b64 s[14:15], s[14:15]
	s_cbranch_execz .LBB22_83
; %bb.82:
	flat_load_dword v0, v[0:1]
	s_waitcnt vmcnt(0) lgkmcnt(0)
	v_cvt_f32_i32_e32 v5, v0
.LBB22_83:
	s_or_b64 exec, exec, s[14:15]
                                        ; implicit-def: $vgpr0_vgpr1
.LBB22_84:
	s_andn2_saveexec_b64 s[12:13], s[12:13]
	s_cbranch_execz .LBB22_86
; %bb.85:
	flat_load_sshort v0, v[0:1]
	s_waitcnt vmcnt(0) lgkmcnt(0)
	v_cvt_f32_i32_e32 v5, v0
.LBB22_86:
	s_or_b64 exec, exec, s[12:13]
                                        ; implicit-def: $vgpr0_vgpr1
                                        ; implicit-def: $vgpr3
.LBB22_87:
	s_andn2_saveexec_b64 s[10:11], s[10:11]
	s_cbranch_execz .LBB22_93
; %bb.88:
	v_mov_b32_e32 v2, 0
	v_cmp_gt_i16_sdwa s[12:13], v3, v2 src0_sel:BYTE_0 src1_sel:DWORD
                                        ; implicit-def: $vgpr5
	s_and_saveexec_b64 s[14:15], s[12:13]
	s_xor_b64 s[12:13], exec, s[14:15]
	s_cbranch_execz .LBB22_90
; %bb.89:
	flat_load_sbyte v0, v[0:1]
	s_waitcnt vmcnt(0) lgkmcnt(0)
	v_cvt_f32_i32_e32 v5, v0
                                        ; implicit-def: $vgpr0_vgpr1
.LBB22_90:
	s_andn2_saveexec_b64 s[12:13], s[12:13]
	s_cbranch_execz .LBB22_92
; %bb.91:
	flat_load_ubyte v0, v[0:1]
	s_waitcnt vmcnt(0) lgkmcnt(0)
	v_cvt_f32_ubyte0_e32 v5, v0
.LBB22_92:
	s_or_b64 exec, exec, s[12:13]
.LBB22_93:
	s_or_b64 exec, exec, s[10:11]
.LBB22_94:
	s_or_b64 exec, exec, s[8:9]
	s_or_b64 s[6:7], s[6:7], exec
	s_or_b64 exec, exec, s[4:5]
                                        ; implicit-def: $vgpr0
	s_and_saveexec_b64 s[10:11], s[6:7]
	s_cbranch_execnz .LBB22_40
.LBB22_95:
	s_or_b64 exec, exec, s[10:11]
	s_waitcnt vmcnt(0) lgkmcnt(0)
	s_setpc_b64 s[30:31]
.LBB22_96:
	s_andn2_saveexec_b64 s[10:11], s[10:11]
	s_cbranch_execz .LBB22_35
.LBB22_97:
	v_mov_b32_e32 v2, 22
	v_cmp_gt_i16_sdwa s[6:7], v3, v2 src0_sel:BYTE_0 src1_sel:DWORD
	s_mov_b64 s[14:15], s[8:9]
                                        ; implicit-def: $vgpr5
	s_and_saveexec_b64 s[16:17], s[6:7]
	s_xor_b64 s[6:7], exec, s[16:17]
	s_cbranch_execz .LBB22_113
; %bb.98:
	v_mov_b32_e32 v2, 23
	v_cmp_gt_i16_sdwa s[14:15], v3, v2 src0_sel:BYTE_0 src1_sel:DWORD
                                        ; implicit-def: $vgpr5
	s_and_saveexec_b64 s[16:17], s[14:15]
	s_xor_b64 s[14:15], exec, s[16:17]
	s_cbranch_execz .LBB22_110
; %bb.99:
	v_mov_b32_e32 v2, 24
	v_cmp_gt_i16_sdwa s[16:17], v3, v2 src0_sel:BYTE_0 src1_sel:DWORD
                                        ; implicit-def: $vgpr5
	s_and_saveexec_b64 s[18:19], s[16:17]
	s_xor_b64 s[16:17], exec, s[18:19]
	s_cbranch_execz .LBB22_107
; %bb.100:
	flat_load_ubyte v2, v[0:1]
	s_movk_i32 s18, 0x7f
                                        ; implicit-def: $sgpr24
	s_waitcnt vmcnt(0) lgkmcnt(0)
	v_cmp_lt_i16_e32 vcc, s18, v2
	s_mov_b64 s[18:19], 0
	s_and_saveexec_b64 s[20:21], vcc
	s_xor_b64 s[20:21], exec, s[20:21]
	s_cbranch_execz .LBB22_135
; %bb.101:
	s_movk_i32 s18, 0x80
	v_cmp_eq_u16_e32 vcc, s18, v2
	s_mov_b64 s[18:19], -1
                                        ; implicit-def: $sgpr24
	s_and_saveexec_b64 s[22:23], vcc
; %bb.102:
	s_mov_b32 s24, 0x7f800001
	s_xor_b64 s[18:19], exec, -1
; %bb.103:
	s_or_b64 exec, exec, s[22:23]
	s_and_b64 s[18:19], s[18:19], exec
	s_or_saveexec_b64 s[20:21], s[20:21]
	v_mov_b32_e32 v5, s24
	s_xor_b64 exec, exec, s[20:21]
	s_cbranch_execnz .LBB22_136
.LBB22_104:
	s_or_b64 exec, exec, s[20:21]
	s_and_saveexec_b64 s[20:21], s[18:19]
	s_cbranch_execz .LBB22_106
.LBB22_105:
	v_lshlrev_b32_e32 v3, 24, v2
	v_and_b32_e32 v2, 0xffff, v2
	v_and_b32_e32 v4, 3, v2
	v_ffbh_u32_e32 v6, v4
	v_min_u32_e32 v6, 32, v6
	v_subrev_u32_e32 v7, 29, v6
	v_bfe_u32 v5, v2, 2, 5
	v_lshlrev_b32_e32 v2, v7, v2
	v_sub_u32_e32 v6, 30, v6
	v_and_b32_e32 v2, 3, v2
	v_cmp_eq_u32_e32 vcc, 0, v5
	v_cndmask_b32_e32 v5, v5, v6, vcc
	v_cndmask_b32_e32 v2, v4, v2, vcc
	v_mov_b32_e32 v4, 0x37800000
	v_lshlrev_b32_e32 v2, 21, v2
	v_and_b32_e32 v3, 0x80000000, v3
	v_lshl_add_u32 v4, v5, 23, v4
	v_or3_b32 v5, v3, v4, v2
.LBB22_106:
	s_or_b64 exec, exec, s[20:21]
.LBB22_107:
	s_andn2_saveexec_b64 s[16:17], s[16:17]
	s_cbranch_execz .LBB22_109
; %bb.108:
	flat_load_ubyte v2, v[0:1]
	s_mov_b32 s18, 0x7f800000
	s_waitcnt vmcnt(0) lgkmcnt(0)
	v_lshlrev_b32_e32 v2, 24, v2
	v_and_b32_e32 v3, 0x7f000000, v2
	v_ffbh_u32_e32 v4, v3
	v_min_u32_e32 v4, 32, v4
	v_sub_u32_e64 v4, v4, 4 clamp
	v_lshlrev_b32_e32 v6, v4, v3
	v_lshlrev_b32_e32 v4, 23, v4
	v_lshrrev_b32_e32 v6, 4, v6
	v_add_u32_e32 v5, 0x1000000, v3
	v_sub_u32_e32 v4, v6, v4
	v_ashrrev_i32_e32 v5, 8, v5
	v_add_u32_e32 v4, 0x3c000000, v4
	v_and_or_b32 v4, v5, s18, v4
	v_cmp_ne_u32_e32 vcc, 0, v3
	v_cndmask_b32_e32 v3, 0, v4, vcc
	s_brev_b32 s18, 1
	v_and_or_b32 v5, v2, s18, v3
.LBB22_109:
	s_or_b64 exec, exec, s[16:17]
.LBB22_110:
	s_andn2_saveexec_b64 s[14:15], s[14:15]
	s_cbranch_execz .LBB22_112
; %bb.111:
	flat_load_ubyte v2, v[0:1]
	s_movk_i32 s16, 0x7f00
	s_brev_b32 s17, 16
	s_waitcnt vmcnt(0) lgkmcnt(0)
	v_lshlrev_b16_e32 v3, 8, v2
	v_lshlrev_b32_e32 v2, 25, v2
	v_lshrrev_b32_e32 v4, 4, v2
	v_and_or_b32 v5, v3, s16, 0.5
	v_or_b32_e32 v4, 0x70000000, v4
	v_add_f32_e32 v5, -0.5, v5
	v_mul_f32_e32 v4, 0x7800000, v4
	v_cmp_gt_u32_e32 vcc, s17, v2
	v_bfe_i32 v3, v3, 0, 16
	v_cndmask_b32_e32 v2, v4, v5, vcc
	s_brev_b32 s16, 1
	v_and_or_b32 v5, v3, s16, v2
.LBB22_112:
	s_or_b64 exec, exec, s[14:15]
	s_or_b64 s[14:15], s[8:9], exec
                                        ; implicit-def: $vgpr3
.LBB22_113:
	s_or_saveexec_b64 s[6:7], s[6:7]
	s_mov_b64 s[18:19], 0
	s_mov_b64 s[16:17], s[12:13]
	s_xor_b64 exec, exec, s[6:7]
	s_cbranch_execz .LBB22_121
; %bb.114:
	v_mov_b32_e32 v2, 14
	v_cmp_gt_i16_sdwa s[20:21], v3, v2 src0_sel:BYTE_0 src1_sel:DWORD
	s_mov_b64 s[16:17], s[12:13]
	s_mov_b64 s[18:19], s[14:15]
                                        ; implicit-def: $vgpr5
	s_and_saveexec_b64 s[22:23], s[20:21]
	s_xor_b64 s[20:21], exec, s[22:23]
	s_cbranch_execz .LBB22_118
; %bb.115:
	v_mov_b32_e32 v2, 15
	v_cmp_eq_u16_sdwa s[24:25], v3, v2 src0_sel:BYTE_0 src1_sel:DWORD
	s_mov_b64 s[16:17], -1
	s_mov_b64 s[18:19], s[14:15]
                                        ; implicit-def: $vgpr5
	s_and_saveexec_b64 s[22:23], s[24:25]
	s_cbranch_execz .LBB22_117
; %bb.116:
	flat_load_ushort v2, v[0:1]
	s_or_b64 s[18:19], s[14:15], exec
	s_xor_b64 s[16:17], exec, -1
	s_waitcnt vmcnt(0) lgkmcnt(0)
	v_lshlrev_b32_e32 v5, 16, v2
.LBB22_117:
	s_or_b64 exec, exec, s[22:23]
	s_andn2_b64 s[22:23], s[14:15], exec
	s_and_b64 s[18:19], s[18:19], exec
	s_or_b64 s[18:19], s[22:23], s[18:19]
	s_andn2_b64 s[22:23], s[12:13], exec
	s_and_b64 s[16:17], s[16:17], exec
	s_or_b64 s[16:17], s[22:23], s[16:17]
                                        ; implicit-def: $vgpr3
.LBB22_118:
	s_or_saveexec_b64 s[20:21], s[20:21]
	s_mov_b64 s[22:23], 0
	s_xor_b64 exec, exec, s[20:21]
; %bb.119:
	v_mov_b32_e32 v2, 11
	v_cmp_ne_u16_sdwa s[24:25], v3, v2 src0_sel:BYTE_0 src1_sel:DWORD
	s_andn2_b64 s[16:17], s[16:17], exec
	s_and_b64 s[24:25], s[24:25], exec
	s_mov_b64 s[22:23], exec
	s_or_b64 s[16:17], s[16:17], s[24:25]
                                        ; implicit-def: $vgpr5
; %bb.120:
	s_or_b64 exec, exec, s[20:21]
	s_andn2_b64 s[14:15], s[14:15], exec
	s_and_b64 s[18:19], s[18:19], exec
	s_andn2_b64 s[20:21], s[12:13], exec
	s_and_b64 s[16:17], s[16:17], exec
	s_or_b64 s[14:15], s[14:15], s[18:19]
	s_and_b64 s[18:19], s[22:23], exec
	s_or_b64 s[16:17], s[20:21], s[16:17]
.LBB22_121:
	s_or_b64 exec, exec, s[6:7]
	s_andn2_b64 s[6:7], s[8:9], exec
	s_and_b64 s[8:9], s[14:15], exec
	s_andn2_b64 s[12:13], s[12:13], exec
	s_and_b64 s[14:15], s[16:17], exec
	s_or_b64 s[8:9], s[6:7], s[8:9]
	s_and_b64 s[6:7], s[18:19], exec
	s_or_b64 s[12:13], s[12:13], s[14:15]
	s_or_b64 exec, exec, s[10:11]
	s_and_saveexec_b64 s[10:11], s[12:13]
	s_cbranch_execz .LBB22_36
.LBB22_122:
	s_trap 2
	; divergent unreachable
	s_andn2_b64 s[6:7], s[6:7], exec
                                        ; implicit-def: $vgpr5
	s_or_b64 exec, exec, s[10:11]
	s_and_saveexec_b64 s[10:11], s[6:7]
	s_xor_b64 s[6:7], exec, s[10:11]
	s_cbranch_execnz .LBB22_37
	s_branch .LBB22_38
.LBB22_123:
	s_or_saveexec_b64 s[20:21], s[20:21]
	v_mov_b32_e32 v5, s24
	s_xor_b64 exec, exec, s[20:21]
	s_cbranch_execz .LBB22_30
.LBB22_124:
	v_cmp_ne_u16_e32 vcc, 0, v2
	s_andn2_b64 s[18:19], s[18:19], exec
	s_and_b64 s[22:23], vcc, exec
	v_mov_b32_e32 v5, 0
	s_or_b64 s[18:19], s[18:19], s[22:23]
	s_or_b64 exec, exec, s[20:21]
	s_and_saveexec_b64 s[20:21], s[18:19]
	s_cbranch_execnz .LBB22_31
	s_branch .LBB22_32
.LBB22_125:
	s_andn2_saveexec_b64 s[4:5], s[20:21]
.LBB22_126:
	s_mov_b32 s6, 0x3f22f983
	v_mul_f32_e64 v4, |v1|, s6
	v_rndne_f32_e32 v6, v4
	s_mov_b32 s6, 0xbfc90fda
	v_cvt_i32_f32_e32 v4, v6
	v_fma_f32 v5, v6, s6, |v1|
	v_fmac_f32_e32 v5, 0xb3a22168, v6
	v_fmac_f32_e32 v5, 0xa7c234c4, v6
; %bb.127:
	s_or_b64 exec, exec, s[4:5]
                                        ; implicit-def: $vgpr6
                                        ; implicit-def: $vgpr7
	s_and_saveexec_b64 s[4:5], s[18:19]
	s_xor_b64 s[18:19], exec, s[4:5]
	s_cbranch_execz .LBB22_129
; %bb.128:
	v_add_u32_e32 v6, 0xffffff88, v8
	v_not_b32_e32 v8, 63
	v_cmp_lt_u32_e32 vcc, 63, v6
	v_cndmask_b32_e32 v8, 0, v8, vcc
	v_add_u32_e32 v6, v8, v6
	v_not_b32_e32 v8, 31
	v_cmp_lt_u32_e64 s[4:5], 31, v6
	v_cndmask_b32_e64 v9, 0, v8, s[4:5]
	v_add_u32_e32 v6, v9, v6
	v_cmp_lt_u32_e64 s[6:7], 31, v6
	v_cndmask_b32_e64 v8, 0, v8, s[6:7]
	v_add_u32_e32 v20, v8, v6
	v_and_b32_e32 v6, 0x7fffff, v2
	v_or_b32_e32 v21, 0x800000, v6
	s_mov_b32 s8, 0xfe5163ab
	v_mad_u64_u32 v[8:9], s[8:9], v21, s8, 0
	v_mov_b32_e32 v7, 0
	v_mov_b32_e32 v6, v9
	s_mov_b32 s8, 0x3c439041
	v_mad_u64_u32 v[10:11], s[8:9], v21, s8, v[6:7]
	v_mov_b32_e32 v6, v11
	s_mov_b32 s8, 0xdb629599
	v_mad_u64_u32 v[12:13], s[8:9], v21, s8, v[6:7]
	;; [unrolled: 3-line block ×6, first 2 shown]
	v_cndmask_b32_e32 v9, v18, v14, vcc
	v_cndmask_b32_e32 v6, v6, v16, vcc
	;; [unrolled: 1-line block ×3, first 2 shown]
	v_cndmask_b32_e64 v11, v6, v9, s[4:5]
	v_cndmask_b32_e64 v6, v7, v6, s[4:5]
	v_cndmask_b32_e32 v7, v16, v12, vcc
	v_cndmask_b32_e64 v9, v9, v7, s[4:5]
	v_cndmask_b32_e32 v10, v14, v10, vcc
	v_cndmask_b32_e64 v6, v6, v11, s[6:7]
	v_cndmask_b32_e64 v11, v11, v9, s[6:7]
	v_sub_u32_e32 v13, 32, v20
	v_cndmask_b32_e64 v7, v7, v10, s[4:5]
	v_alignbit_b32 v15, v6, v11, v13
	v_cmp_eq_u32_e64 s[8:9], 0, v20
	v_cndmask_b32_e64 v9, v9, v7, s[6:7]
	v_cndmask_b32_e64 v6, v15, v6, s[8:9]
	v_alignbit_b32 v14, v11, v9, v13
	v_cndmask_b32_e64 v11, v14, v11, s[8:9]
	v_bfe_u32 v16, v6, 29, 1
	v_cndmask_b32_e32 v8, v12, v8, vcc
	v_alignbit_b32 v14, v6, v11, 30
	v_sub_u32_e32 v17, 0, v16
	v_cndmask_b32_e64 v8, v10, v8, s[4:5]
	v_xor_b32_e32 v18, v14, v17
	v_cndmask_b32_e64 v7, v7, v8, s[6:7]
	v_alignbit_b32 v8, v9, v7, v13
	v_ffbh_u32_e32 v10, v18
	v_cndmask_b32_e64 v8, v8, v9, s[8:9]
	v_add_u32_e32 v10, 1, v10
	v_cmp_ne_u32_e32 vcc, v14, v17
	v_alignbit_b32 v9, v11, v8, 30
	v_cndmask_b32_e32 v10, 33, v10, vcc
	v_alignbit_b32 v7, v8, v7, 30
	v_xor_b32_e32 v9, v9, v17
	v_sub_u32_e32 v11, 32, v10
	v_xor_b32_e32 v7, v7, v17
	v_alignbit_b32 v12, v18, v9, v11
	v_alignbit_b32 v7, v9, v7, v11
	;; [unrolled: 1-line block ×3, first 2 shown]
	v_ffbh_u32_e32 v9, v8
	v_min_u32_e32 v9, 32, v9
	v_lshrrev_b32_e32 v15, 29, v6
	v_sub_u32_e32 v11, 31, v9
	v_alignbit_b32 v7, v8, v7, v11
	v_lshlrev_b32_e32 v8, 31, v15
	v_or_b32_e32 v11, 0x33800000, v8
	v_add_lshl_u32 v9, v9, v10, 23
	v_lshrrev_b32_e32 v7, 9, v7
	v_sub_u32_e32 v9, v11, v9
	v_or_b32_e32 v7, v9, v7
	v_alignbit_b32 v9, v10, v12, 9
	v_or_b32_e32 v8, v9, v8
	v_xor_b32_e32 v8, 1.0, v8
	s_mov_b32 s4, 0x3fc90fda
	v_mul_f32_e32 v9, 0x3fc90fda, v8
	v_fma_f32 v10, v8, s4, -v9
	v_fmac_f32_e32 v10, 0x33a22168, v8
	v_fmac_f32_e32 v10, 0x3fc90fda, v7
	v_lshrrev_b32_e32 v6, 30, v6
	v_add_f32_e32 v7, v9, v10
	v_add_u32_e32 v6, v16, v6
	s_andn2_saveexec_b64 s[4:5], s[18:19]
	s_cbranch_execnz .LBB22_130
	s_branch .LBB22_131
.LBB22_129:
	s_andn2_saveexec_b64 s[4:5], s[18:19]
.LBB22_130:
	s_mov_b32 s6, 0x3f22f983
	v_mul_f32_e64 v6, |v1|, s6
	v_rndne_f32_e32 v8, v6
	s_mov_b32 s6, 0xbfc90fda
	v_cvt_i32_f32_e32 v6, v8
	v_fma_f32 v7, v8, s6, |v1|
	v_fmac_f32_e32 v7, 0xb3a22168, v8
	v_fmac_f32_e32 v7, 0xa7c234c4, v8
.LBB22_131:
	s_or_b64 exec, exec, s[4:5]
	v_div_scale_f32 v8, s[4:5], v3, v3, 1.0
	v_rcp_f32_e32 v9, v8
	v_div_scale_f32 v10, vcc, 1.0, v3, 1.0
	v_mov_b32_e32 v15, 0xb29020e8
	v_fma_f32 v11, -v8, v9, 1.0
	v_fmac_f32_e32 v9, v11, v9
	v_mul_f32_e32 v11, v10, v9
	v_fma_f32 v12, -v8, v11, v10
	v_fmac_f32_e32 v11, v12, v9
	v_fma_f32 v8, -v8, v11, v10
	v_div_fmas_f32 v8, v8, v9, v11
	v_div_fixup_f32 v3, v8, v3, 1.0
	v_mul_f32_e32 v8, v3, v3
	v_mov_b32_e32 v9, 0xbe06db67
	v_fmac_f32_e32 v9, 0, v8
	v_mov_b32_e32 v10, 0xbf205f75
	v_fmac_f32_e32 v10, v8, v9
	;; [unrolled: 2-line block ×15, first 2 shown]
	v_mov_b32_e32 v11, 0x389e46bd
	v_mul_f32_e32 v16, v5, v5
	v_mov_b32_e32 v13, 0xbab64f3b
	v_fmac_f32_e32 v11, v8, v9
	v_mov_b32_e32 v14, 0x34f295ce
	v_fmac_f32_e32 v15, v8, v10
	;; [unrolled: 2-line block ×4, first 2 shown]
	v_fmac_f32_e32 v10, 0xb94c1982, v16
	v_mov_b32_e32 v11, 0xbe2aaa9d
	v_fma_f32 v17, v16, v13, v12
	v_mov_b32_e32 v13, 0xbf000004
	v_fma_f32 v10, v16, v10, v11
	v_fma_f32 v17, v16, v17, v13
	v_mul_f32_e32 v10, v16, v10
	v_fma_f32 v16, v16, v17, 1.0
	v_and_b32_e32 v17, 1, v4
	v_lshlrev_b32_e32 v4, 30, v4
	v_fmac_f32_e32 v5, v5, v10
	v_cmp_eq_u32_e32 vcc, 0, v17
	v_and_b32_e32 v4, 0x80000000, v4
	v_xor_b32_e32 v2, v2, v1
	v_cndmask_b32_e32 v5, v16, v5, vcc
	v_xor_b32_e32 v2, v2, v4
	v_xor_b32_e32 v4, v2, v5
	v_mul_f32_e32 v5, v8, v15
	v_div_scale_f32 v15, s[4:5], v14, v14, v5
	v_rcp_f32_e32 v16, v15
	s_movk_i32 s6, 0x1f8
	v_mov_b32_e32 v2, 0x7fc00000
	v_cmp_class_f32_e64 s[4:5], v1, s6
	v_cndmask_b32_e64 v1, v2, v4, s[4:5]
	v_fma_f32 v4, -v15, v16, 1.0
	v_fmac_f32_e32 v16, v4, v16
	v_div_scale_f32 v4, vcc, v5, v14, v5
	v_mul_f32_e32 v17, v4, v16
	v_fma_f32 v18, -v15, v17, v4
	v_fmac_f32_e32 v17, v18, v16
	v_fma_f32 v4, -v15, v17, v4
	v_div_fmas_f32 v4, v4, v16, v17
	v_div_fixup_f32 v4, v4, v14, v5
	v_mov_b32_e32 v5, 0x3ca1a92f
	v_fmac_f32_e32 v5, 0, v8
	v_mov_b32_e32 v14, 0x3ec83ea8
	v_fmac_f32_e32 v14, v8, v5
	;; [unrolled: 2-line block ×17, first 2 shown]
	v_mov_b32_e32 v14, 0x3b873823
	s_mov_b32 s6, 0xf800000
	v_fmac_f32_e32 v14, v8, v15
	v_mul_f32_e32 v15, 0x4f800000, v0
	v_cmp_gt_f32_e32 vcc, s6, v0
	v_cndmask_b32_e32 v0, v0, v15, vcc
	v_sqrt_f32_e32 v15, v0
	s_mov_b32 s8, 0x3f106ebb
	v_mov_b32_e32 v16, 0x38d45b0f
	v_fmac_f32_e32 v16, v8, v14
	v_add_u32_e32 v17, -1, v15
	v_fma_f32 v18, -v17, v15, v0
	v_cmp_ge_f32_e64 s[6:7], 0, v18
	v_add_u32_e32 v18, 1, v15
	v_cndmask_b32_e64 v17, v15, v17, s[6:7]
	v_fma_f32 v15, -v18, v15, v0
	v_cmp_lt_f32_e64 s[6:7], 0, v15
	v_cndmask_b32_e64 v15, v17, v18, s[6:7]
	v_mul_f32_e32 v17, 0x37800000, v15
	v_cndmask_b32_e32 v15, v15, v17, vcc
	v_mov_b32_e32 v17, 0x260
	v_cmp_class_f32_e32 vcc, v0, v17
	v_cndmask_b32_e32 v0, v15, v0, vcc
	v_div_scale_f32 v15, s[6:7], v0, v0, s8
	v_rcp_f32_e32 v17, v15
	v_mov_b32_e32 v14, 0x359d422f
	v_fmac_f32_e32 v14, v8, v16
	v_mov_b32_e32 v16, 0x31a8fe3a
	v_fmac_f32_e32 v16, v8, v14
	v_fma_f32 v8, -v15, v17, 1.0
	v_fmac_f32_e32 v17, v8, v17
	v_div_scale_f32 v8, vcc, s8, v0, s8
	v_mul_f32_e32 v14, v8, v17
	v_fma_f32 v18, -v15, v14, v8
	v_fmac_f32_e32 v14, v18, v17
	v_fma_f32 v8, -v15, v14, v8
	v_div_fmas_f32 v8, v8, v17, v14
	v_mov_b32_e32 v9, 0x3c0881c4
	v_div_fixup_f32 v0, v8, v0, s8
	v_mul_f32_e32 v8, v7, v7
	v_mov_b32_e32 v10, 0xbab64f3b
	v_fmac_f32_e32 v9, 0xb94c1982, v8
	v_fmac_f32_e32 v11, v8, v9
	;; [unrolled: 1-line block ×3, first 2 shown]
	v_mul_f32_e32 v9, v8, v11
	v_fmac_f32_e32 v12, v8, v10
	v_fmac_f32_e32 v7, v7, v9
	;; [unrolled: 1-line block ×3, first 2 shown]
	v_and_b32_e32 v9, 1, v6
	v_mul_f32_e32 v3, v3, v5
	v_fma_f32 v8, v8, v13, 1.0
	v_cmp_eq_u32_e32 vcc, 0, v9
	v_div_scale_f32 v5, s[6:7], v16, v16, v3
	v_cndmask_b32_e64 v7, -v7, v8, vcc
	v_rcp_f32_e32 v8, v5
	v_lshlrev_b32_e32 v6, 30, v6
	v_and_b32_e32 v6, 0x80000000, v6
	v_xor_b32_e32 v6, v6, v7
	v_cndmask_b32_e64 v2, v2, v6, s[4:5]
	v_fma_f32 v6, -v5, v8, 1.0
	v_fmac_f32_e32 v8, v6, v8
	v_div_scale_f32 v6, vcc, v3, v16, v3
	v_mul_f32_e32 v7, v6, v8
	v_fma_f32 v9, -v5, v7, v6
	v_fmac_f32_e32 v7, v9, v8
	v_fma_f32 v5, -v5, v7, v6
	v_div_fmas_f32 v5, v5, v8, v7
	v_div_fixup_f32 v3, v5, v16, v3
	v_add_f32_e32 v4, 1.0, v4
	v_mul_f32_e32 v2, v3, v2
	v_fma_f32 v1, v4, v1, -v2
	v_mul_f32_e32 v0, v0, v1
.LBB22_132:
	s_or_b64 exec, exec, s[16:17]
.LBB22_133:
	s_or_b64 exec, exec, s[14:15]
.LBB22_134:
	s_or_b64 exec, exec, s[12:13]
	s_or_b64 exec, exec, s[10:11]
	s_setpc_b64 s[30:31]
.LBB22_135:
	s_or_saveexec_b64 s[20:21], s[20:21]
	v_mov_b32_e32 v5, s24
	s_xor_b64 exec, exec, s[20:21]
	s_cbranch_execz .LBB22_104
.LBB22_136:
	v_cmp_ne_u16_e32 vcc, 0, v2
	s_andn2_b64 s[18:19], s[18:19], exec
	s_and_b64 s[22:23], vcc, exec
	v_mov_b32_e32 v5, 0
	s_or_b64 s[18:19], s[18:19], s[22:23]
	s_or_b64 exec, exec, s[20:21]
	s_and_saveexec_b64 s[20:21], s[18:19]
	s_cbranch_execnz .LBB22_105
	s_branch .LBB22_106
.Lfunc_end22:
	.size	_ZN2at6native6invokeIZZZNS0_12_GLOBAL__N_119airy_ai_kernel_cudaERNS_18TensorIteratorBaseEENKUlvE_clEvENKUlvE0_clEvEUlfE_j15function_traitsIS7_EEENT1_11result_typeERKT_PrKPcPKT0_PKN3c1010ScalarTypeEi, .Lfunc_end22-_ZN2at6native6invokeIZZZNS0_12_GLOBAL__N_119airy_ai_kernel_cudaERNS_18TensorIteratorBaseEENKUlvE_clEvENKUlvE0_clEvEUlfE_j15function_traitsIS7_EEENT1_11result_typeERKT_PrKPcPKT0_PKN3c1010ScalarTypeEi
                                        ; -- End function
	.section	.AMDGPU.csdata,"",@progbits
; Function info:
; codeLenInByte = 6688
; NumSgprs: 36
; NumVgprs: 22
; NumAgprs: 0
; TotalNumVgprs: 22
; ScratchSize: 0
; MemoryBound: 1
	.section	.text._ZN2at6native32elementwise_kernel_manual_unrollILi128ELi4EZNS0_15gpu_kernel_implIZZZNS0_12_GLOBAL__N_119airy_ai_kernel_cudaERNS_18TensorIteratorBaseEENKUlvE_clEvENKUlvE0_clEvEUlfE_EEvS5_RKT_EUlibE0_EEviT1_,"axG",@progbits,_ZN2at6native32elementwise_kernel_manual_unrollILi128ELi4EZNS0_15gpu_kernel_implIZZZNS0_12_GLOBAL__N_119airy_ai_kernel_cudaERNS_18TensorIteratorBaseEENKUlvE_clEvENKUlvE0_clEvEUlfE_EEvS5_RKT_EUlibE0_EEviT1_,comdat
	.globl	_ZN2at6native32elementwise_kernel_manual_unrollILi128ELi4EZNS0_15gpu_kernel_implIZZZNS0_12_GLOBAL__N_119airy_ai_kernel_cudaERNS_18TensorIteratorBaseEENKUlvE_clEvENKUlvE0_clEvEUlfE_EEvS5_RKT_EUlibE0_EEviT1_ ; -- Begin function _ZN2at6native32elementwise_kernel_manual_unrollILi128ELi4EZNS0_15gpu_kernel_implIZZZNS0_12_GLOBAL__N_119airy_ai_kernel_cudaERNS_18TensorIteratorBaseEENKUlvE_clEvENKUlvE0_clEvEUlfE_EEvS5_RKT_EUlibE0_EEviT1_
	.p2align	8
	.type	_ZN2at6native32elementwise_kernel_manual_unrollILi128ELi4EZNS0_15gpu_kernel_implIZZZNS0_12_GLOBAL__N_119airy_ai_kernel_cudaERNS_18TensorIteratorBaseEENKUlvE_clEvENKUlvE0_clEvEUlfE_EEvS5_RKT_EUlibE0_EEviT1_,@function
_ZN2at6native32elementwise_kernel_manual_unrollILi128ELi4EZNS0_15gpu_kernel_implIZZZNS0_12_GLOBAL__N_119airy_ai_kernel_cudaERNS_18TensorIteratorBaseEENKUlvE_clEvENKUlvE0_clEvEUlfE_EEvS5_RKT_EUlibE0_EEviT1_: ; @_ZN2at6native32elementwise_kernel_manual_unrollILi128ELi4EZNS0_15gpu_kernel_implIZZZNS0_12_GLOBAL__N_119airy_ai_kernel_cudaERNS_18TensorIteratorBaseEENKUlvE_clEvENKUlvE0_clEvEUlfE_EEvS5_RKT_EUlibE0_EEviT1_
; %bb.0:
	s_load_dword s74, s[4:5], 0x0
	s_load_dword s33, s[4:5], 0x8
	s_add_u32 flat_scratch_lo, s6, s9
	s_addc_u32 flat_scratch_hi, s7, 0
	s_add_u32 s0, s0, s9
	s_mov_b64 s[28:29], s[4:5]
	s_addc_u32 s1, s1, 0
	s_or_b32 s34, s28, 8
	v_lshl_or_b32 v26, s8, 9, v0
	s_waitcnt lgkmcnt(0)
	s_add_i32 s76, s33, -1
	v_or_b32_e32 v1, 0x180, v26
	s_cmp_gt_u32 s76, 1
	s_mov_b32 s35, s5
	v_cmp_le_i32_e32 vcc, s74, v1
	s_cselect_b64 s[50:51], -1, 0
	s_mov_b64 s[48:49], 0
	s_mov_b64 s[40:41], 0
	s_mov_b32 s32, 0
	s_and_saveexec_b64 s[4:5], vcc
	s_xor_b64 s[52:53], exec, s[4:5]
	s_cbranch_execz .LBB23_570
; %bb.1:
	v_mov_b32_e32 v0, 0
	global_load_ushort v23, v0, s[34:35] offset:345
	s_load_dwordx4 s[44:47], s[34:35], 0x4
	s_load_dwordx2 s[54:55], s[34:35], 0x14
	s_load_dwordx4 s[40:43], s[34:35], 0xc4
	s_load_dwordx4 s[36:39], s[34:35], 0x148
	s_cmp_lg_u32 s33, 0
	s_cselect_b64 s[60:61], -1, 0
	s_add_u32 s58, s34, 0xc4
	s_addc_u32 s59, s35, 0
	s_min_u32 s77, s76, 15
	s_cmp_gt_u32 s33, 1
	v_cmp_gt_i32_e32 vcc, s74, v26
	s_mov_b64 s[4:5], -1
	s_mov_b64 s[68:69], 0
	s_cselect_b64 s[56:57], -1, 0
	s_mov_b64 s[62:63], 0
	s_waitcnt vmcnt(0)
	v_lshrrev_b16_e32 v22, 8, v23
	s_and_saveexec_b64 s[64:65], vcc
	s_cbranch_execz .LBB23_139
; %bb.2:
	s_andn2_b64 vcc, exec, s[50:51]
	s_cbranch_vccnz .LBB23_8
; %bb.3:
	s_mov_b32 s24, 0
	s_andn2_b64 vcc, exec, s[60:61]
	v_mov_b32_e32 v2, 0
	v_mov_b32_e32 v24, 0
	s_cbranch_vccnz .LBB23_14
; %bb.4:
	s_add_i32 s62, s77, 1
	s_cmp_eq_u32 s76, 2
	s_cbranch_scc1 .LBB23_9
; %bb.5:
	s_and_b32 s24, s62, 28
	s_mov_b32 s25, 0
	v_mov_b32_e32 v24, 0
	s_mov_b64 s[26:27], s[34:35]
	s_mov_b64 s[30:31], s[58:59]
	v_mov_b32_e32 v0, v26
	v_mov_b32_e32 v2, 0
.LBB23_6:                               ; =>This Inner Loop Header: Depth=1
	s_load_dwordx8 s[12:19], s[26:27], 0x4
	s_load_dwordx4 s[20:23], s[26:27], 0x24
	s_load_dwordx8 s[4:11], s[30:31], 0x0
	s_add_u32 s26, s26, 48
	s_addc_u32 s27, s27, 0
	s_waitcnt lgkmcnt(0)
	v_mul_hi_u32 v1, s13, v0
	v_add_u32_e32 v1, v0, v1
	v_lshrrev_b32_e32 v1, s14, v1
	v_mul_lo_u32 v3, v1, s12
	v_mul_hi_u32 v4, s16, v1
	v_sub_u32_e32 v0, v0, v3
	v_add_u32_e32 v3, v1, v4
	v_lshrrev_b32_e32 v3, s17, v3
	v_mul_lo_u32 v5, v3, s15
	v_mul_hi_u32 v6, s19, v3
	v_sub_u32_e32 v1, v1, v5
	v_add_u32_e32 v5, v3, v6
	v_mul_lo_u32 v4, v0, s5
	v_mul_lo_u32 v0, v0, s4
	;; [unrolled: 1-line block ×4, first 2 shown]
	v_lshrrev_b32_e32 v5, s20, v5
	v_add3_u32 v1, v0, v24, v1
	v_add3_u32 v2, v4, v2, v6
	v_mul_lo_u32 v0, v5, s18
	v_mul_hi_u32 v4, s22, v5
	v_sub_u32_e32 v0, v3, v0
	v_add_u32_e32 v3, v5, v4
	v_mul_lo_u32 v4, v0, s8
	v_mul_lo_u32 v6, v0, s9
	v_lshrrev_b32_e32 v0, s23, v3
	s_add_i32 s25, s25, 4
	v_mul_lo_u32 v3, v0, s21
	s_add_u32 s30, s30, 32
	v_sub_u32_e32 v3, v5, v3
	s_addc_u32 s31, s31, 0
	v_mul_lo_u32 v5, v3, s10
	v_mul_lo_u32 v3, v3, s11
	s_cmp_lg_u32 s24, s25
	v_add3_u32 v2, v6, v2, v3
	v_add3_u32 v24, v4, v1, v5
	s_cbranch_scc1 .LBB23_6
; %bb.7:
	v_mov_b32_e32 v25, v2
	s_branch .LBB23_10
.LBB23_8:
                                        ; implicit-def: $vgpr2
                                        ; implicit-def: $vgpr24
	s_andn2_b64 vcc, exec, s[4:5]
	s_cbranch_vccz .LBB23_15
	s_branch .LBB23_17
.LBB23_9:
	s_mov_b32 s25, s24
	v_pk_mov_b32 v[24:25], s[24:25], s[24:25] op_sel:[0,1]
                                        ; implicit-def: $vgpr2
	v_mov_b32_e32 v0, v26
.LBB23_10:
	s_and_b32 s8, s62, 3
	s_cmp_eq_u32 s8, 0
	s_cbranch_scc1 .LBB23_14
; %bb.11:
	s_lshl_b32 s4, s24, 3
	s_add_u32 s4, s4, s34
	s_addc_u32 s5, s35, 0
	s_add_u32 s4, s4, 0xc4
	s_addc_u32 s5, s5, 0
	s_mul_i32 s6, s24, 12
	s_add_u32 s6, s34, s6
	s_addc_u32 s7, s35, 0
.LBB23_12:                              ; =>This Inner Loop Header: Depth=1
	s_load_dwordx2 s[10:11], s[6:7], 0x4
	s_load_dword s9, s[6:7], 0xc
	s_load_dwordx2 s[12:13], s[4:5], 0x0
	s_add_u32 s6, s6, 12
	s_addc_u32 s7, s7, 0
	s_waitcnt lgkmcnt(0)
	v_mul_hi_u32 v1, s11, v0
	v_add_u32_e32 v1, v0, v1
	v_lshrrev_b32_e32 v1, s9, v1
	v_mul_lo_u32 v3, v1, s10
	v_mov_b32_e32 v2, v25
	s_add_u32 s4, s4, 8
	v_sub_u32_e32 v4, v0, v3
	s_addc_u32 s5, s5, 0
	s_add_i32 s8, s8, -1
	v_mad_u64_u32 v[2:3], s[10:11], v4, s13, v[2:3]
	v_mad_u64_u32 v[24:25], s[10:11], v4, s12, v[24:25]
	s_cmp_lg_u32 s8, 0
	v_mov_b32_e32 v0, v1
	v_mov_b32_e32 v25, v2
	s_cbranch_scc1 .LBB23_12
; %bb.13:
	v_mov_b32_e32 v2, v25
.LBB23_14:
	s_cbranch_execnz .LBB23_17
.LBB23_15:
	s_waitcnt lgkmcnt(0)
	v_mul_hi_u32 v0, s45, v26
	v_add_u32_e32 v0, v26, v0
	v_lshrrev_b32_e32 v0, s46, v0
	v_mul_lo_u32 v1, v0, s44
	v_sub_u32_e32 v1, v26, v1
	v_mul_lo_u32 v2, v1, s41
	s_andn2_b64 vcc, exec, s[56:57]
	v_mul_lo_u32 v24, v1, s40
	s_cbranch_vccnz .LBB23_17
; %bb.16:
	v_mul_hi_u32 v1, s54, v0
	v_add_u32_e32 v1, v0, v1
	v_lshrrev_b32_e32 v1, s55, v1
	v_mul_lo_u32 v1, v1, s47
	v_sub_u32_e32 v0, v0, v1
	v_mad_u64_u32 v[24:25], s[4:5], v0, s42, v[24:25]
	v_mad_u64_u32 v[2:3], s[4:5], v0, s43, v[2:3]
.LBB23_17:
	s_waitcnt lgkmcnt(0)
	v_mov_b32_e32 v0, s38
	v_mov_b32_e32 v1, s39
	;; [unrolled: 1-line block ×3, first 2 shown]
	s_getpc_b64 s[4:5]
	s_add_u32 s4, s4, _ZN2at6native6invokeIZZZNS0_12_GLOBAL__N_119airy_ai_kernel_cudaERNS_18TensorIteratorBaseEENKUlvE_clEvENKUlvE0_clEvEUlfE_j15function_traitsIS7_EEENT1_11result_typeERKT_PrKPcPKT0_PKN3c1010ScalarTypeEi@rel32@lo+4
	s_addc_u32 s5, s5, _ZN2at6native6invokeIZZZNS0_12_GLOBAL__N_119airy_ai_kernel_cudaERNS_18TensorIteratorBaseEENKUlvE_clEvENKUlvE0_clEvEUlfE_j15function_traitsIS7_EEENT1_11result_typeERKT_PrKPcPKT0_PKN3c1010ScalarTypeEi@rel32@hi+12
	s_swappc_b64 s[30:31], s[4:5]
	v_mov_b32_e32 v1, s37
	v_add_co_u32_e32 v2, vcc, s36, v24
	v_addc_co_u32_e32 v3, vcc, 0, v1, vcc
	v_mov_b32_e32 v1, 11
	v_cmp_lt_i16_sdwa s[4:5], v23, v1 src0_sel:BYTE_0 src1_sel:DWORD
	s_and_b64 vcc, exec, s[4:5]
	s_cbranch_vccnz .LBB23_24
; %bb.18:
	v_mov_b32_e32 v1, 25
	v_cmp_gt_i16_sdwa s[4:5], v23, v1 src0_sel:BYTE_0 src1_sel:DWORD
	s_and_b64 vcc, exec, s[4:5]
	s_cbranch_vccz .LBB23_27
; %bb.19:
	v_mov_b32_e32 v1, 28
	v_cmp_gt_i16_sdwa s[4:5], v23, v1 src0_sel:BYTE_0 src1_sel:DWORD
	s_and_b64 vcc, exec, s[4:5]
	s_cbranch_vccz .LBB23_28
	;; [unrolled: 5-line block ×4, first 2 shown]
; %bb.22:
	v_mov_b32_e32 v1, 46
	v_cmp_eq_u16_sdwa s[6:7], v23, v1 src0_sel:BYTE_0 src1_sel:DWORD
	s_mov_b64 s[8:9], 0
	s_mov_b64 s[4:5], -1
	s_and_b64 vcc, exec, s[6:7]
	s_mov_b64 s[6:7], 0
	s_cbranch_vccz .LBB23_31
; %bb.23:
	v_bfe_u32 v1, v0, 16, 1
	s_movk_i32 s4, 0x7fff
	v_add3_u32 v1, v0, v1, s4
	v_lshrrev_b32_e32 v1, 16, v1
	v_mov_b32_e32 v4, 0x7fc0
	v_cmp_o_f32_e32 vcc, v0, v0
	v_cndmask_b32_e32 v1, v4, v1, vcc
	global_store_dword v[2:3], v1, off
	s_mov_b64 s[6:7], -1
	s_mov_b64 s[4:5], 0
	s_branch .LBB23_31
.LBB23_24:
	s_mov_b64 s[4:5], 0
	s_mov_b64 s[6:7], 0
	s_cbranch_execnz .LBB23_99
.LBB23_25:
	s_andn2_b64 vcc, exec, s[6:7]
	s_cbranch_vccnz .LBB23_137
.LBB23_26:
	v_add_u32_e32 v26, 0x80, v26
	s_mov_b64 s[6:7], -1
	s_branch .LBB23_138
.LBB23_27:
	s_mov_b64 s[4:5], 0
	s_mov_b64 s[6:7], 0
	s_cbranch_execnz .LBB23_58
	s_branch .LBB23_98
.LBB23_28:
	s_mov_b64 s[8:9], -1
	s_mov_b64 s[4:5], 0
	s_mov_b64 s[6:7], 0
	s_branch .LBB23_41
.LBB23_29:
	s_mov_b64 s[8:9], -1
	s_mov_b64 s[4:5], 0
	s_mov_b64 s[6:7], 0
	s_branch .LBB23_37
.LBB23_30:
	s_mov_b64 s[8:9], -1
	s_mov_b64 s[4:5], 0
	s_mov_b64 s[6:7], 0
.LBB23_31:
	s_and_b64 vcc, exec, s[8:9]
	s_cbranch_vccz .LBB23_36
; %bb.32:
	v_mov_b32_e32 v1, 44
	v_cmp_eq_u16_sdwa s[8:9], v23, v1 src0_sel:BYTE_0 src1_sel:DWORD
	s_mov_b64 s[4:5], -1
	s_and_b64 vcc, exec, s[8:9]
	s_cbranch_vccz .LBB23_36
; %bb.33:
	v_bfe_u32 v1, v0, 23, 8
	s_movk_i32 s4, 0xff
	v_cmp_ne_u32_e32 vcc, s4, v1
	v_mov_b32_e32 v4, 0xff
	s_and_saveexec_b64 s[6:7], vcc
; %bb.34:
	s_mov_b32 s4, 0x3fffff
	v_and_b32_e32 v5, 0x400000, v0
	v_and_or_b32 v1, v0, s4, v1
	v_cmp_ne_u32_e32 vcc, 0, v5
	v_cmp_ne_u32_e64 s[4:5], 0, v1
	s_and_b64 s[4:5], vcc, s[4:5]
	v_lshrrev_b32_e32 v4, 23, v0
	v_cndmask_b32_e64 v1, 0, 1, s[4:5]
	v_add_u32_e32 v4, v4, v1
; %bb.35:
	s_or_b64 exec, exec, s[6:7]
	s_mov_b64 s[6:7], -1
	s_mov_b64 s[4:5], 0
	global_store_byte v[2:3], v4, off
.LBB23_36:
	s_mov_b64 s[8:9], 0
.LBB23_37:
	s_and_b64 vcc, exec, s[8:9]
	s_cbranch_vccz .LBB23_40
; %bb.38:
	v_mov_b32_e32 v1, 29
	v_cmp_eq_u16_sdwa s[8:9], v23, v1 src0_sel:BYTE_0 src1_sel:DWORD
	s_mov_b64 s[4:5], -1
	s_and_b64 vcc, exec, s[8:9]
	s_cbranch_vccz .LBB23_40
; %bb.39:
	v_trunc_f32_e32 v1, v0
	v_mul_f32_e32 v4, 0x2f800000, v1
	v_floor_f32_e32 v4, v4
	v_fmac_f32_e32 v1, 0xcf800000, v4
	v_cvt_u32_f32_e32 v5, v4
	v_cvt_u32_f32_e32 v4, v1
	s_mov_b64 s[6:7], -1
	s_mov_b64 s[4:5], 0
	s_mov_b64 s[8:9], 0
	global_store_dwordx2 v[2:3], v[4:5], off
	s_branch .LBB23_41
.LBB23_40:
	s_mov_b64 s[8:9], 0
.LBB23_41:
	s_and_b64 vcc, exec, s[8:9]
	s_cbranch_vccz .LBB23_57
; %bb.42:
	v_mov_b32_e32 v1, 27
	v_cmp_lt_i16_sdwa s[8:9], v23, v1 src0_sel:BYTE_0 src1_sel:DWORD
	s_mov_b64 s[6:7], -1
	s_and_b64 vcc, exec, s[8:9]
	s_cbranch_vccnz .LBB23_48
; %bb.43:
	v_cmp_gt_i16_sdwa s[8:9], v23, v1 src0_sel:BYTE_0 src1_sel:DWORD
	s_and_b64 vcc, exec, s[8:9]
	s_cbranch_vccz .LBB23_45
; %bb.44:
	v_cvt_u32_f32_e32 v1, v0
	s_mov_b64 s[6:7], 0
	global_store_dword v[2:3], v1, off
.LBB23_45:
	s_andn2_b64 vcc, exec, s[6:7]
	s_cbranch_vccnz .LBB23_47
; %bb.46:
	v_cvt_u32_f32_e32 v1, v0
	global_store_short v[2:3], v1, off
.LBB23_47:
	s_mov_b64 s[6:7], 0
.LBB23_48:
	s_andn2_b64 vcc, exec, s[6:7]
	s_cbranch_vccnz .LBB23_56
; %bb.49:
	v_and_b32_e32 v1, 0x7fffffff, v0
	s_mov_b32 s6, 0x43800000
	v_cmp_gt_u32_e32 vcc, s6, v1
	v_mov_b32_e32 v4, 0x80
	s_and_saveexec_b64 s[6:7], vcc
	s_cbranch_execz .LBB23_55
; %bb.50:
	s_mov_b32 s8, 0x3bffffff
	v_cmp_lt_u32_e32 vcc, s8, v1
	s_mov_b64 s[8:9], 0
                                        ; implicit-def: $vgpr1
	s_and_saveexec_b64 s[10:11], vcc
	s_xor_b64 s[10:11], exec, s[10:11]
	s_cbranch_execz .LBB23_171
; %bb.51:
	v_bfe_u32 v1, v0, 20, 1
	s_mov_b32 s12, 0x487ffff
	v_add3_u32 v1, v0, v1, s12
	s_mov_b64 s[8:9], exec
	v_lshrrev_b32_e32 v1, 20, v1
	s_or_saveexec_b64 s[10:11], s[10:11]
                                        ; implicit-def: $sgpr12
	s_xor_b64 exec, exec, s[10:11]
	s_cbranch_execnz .LBB23_172
.LBB23_52:
	s_or_b64 exec, exec, s[10:11]
	v_mov_b32_e32 v4, s12
	s_and_saveexec_b64 s[10:11], s[8:9]
.LBB23_53:
	v_lshrrev_b32_e32 v4, 24, v0
	s_movk_i32 s8, 0x80
	v_and_or_b32 v4, v4, s8, v1
.LBB23_54:
	s_or_b64 exec, exec, s[10:11]
.LBB23_55:
	s_or_b64 exec, exec, s[6:7]
	global_store_byte v[2:3], v4, off
.LBB23_56:
	s_mov_b64 s[6:7], -1
.LBB23_57:
	s_branch .LBB23_98
.LBB23_58:
	v_mov_b32_e32 v1, 22
	v_cmp_gt_i16_sdwa s[10:11], v23, v1 src0_sel:BYTE_0 src1_sel:DWORD
	s_mov_b64 s[8:9], -1
	s_and_b64 vcc, exec, s[10:11]
	s_cbranch_vccz .LBB23_90
; %bb.59:
	v_mov_b32_e32 v1, 24
	v_cmp_lt_i16_sdwa s[8:9], v23, v1 src0_sel:BYTE_0 src1_sel:DWORD
	s_mov_b64 s[6:7], -1
	s_and_b64 vcc, exec, s[8:9]
	s_cbranch_vccnz .LBB23_79
; %bb.60:
	v_cmp_gt_i16_sdwa s[8:9], v23, v1 src0_sel:BYTE_0 src1_sel:DWORD
	s_and_b64 vcc, exec, s[8:9]
	s_cbranch_vccz .LBB23_68
; %bb.61:
	v_and_b32_e32 v1, 0x7fffffff, v0
	s_mov_b32 s6, 0x47800000
	v_cmp_gt_u32_e32 vcc, s6, v1
	v_mov_b32_e32 v4, 0x80
	s_and_saveexec_b64 s[6:7], vcc
	s_cbranch_execz .LBB23_67
; %bb.62:
	s_mov_b32 s8, 0x37ffffff
	v_cmp_lt_u32_e32 vcc, s8, v1
	s_mov_b64 s[8:9], 0
                                        ; implicit-def: $vgpr1
	s_and_saveexec_b64 s[10:11], vcc
	s_xor_b64 s[10:11], exec, s[10:11]
	s_cbranch_execz .LBB23_174
; %bb.63:
	v_bfe_u32 v1, v0, 21, 1
	s_mov_b32 s12, 0x88fffff
	v_add3_u32 v1, v0, v1, s12
	s_mov_b64 s[8:9], exec
	v_lshrrev_b32_e32 v1, 21, v1
	s_or_saveexec_b64 s[10:11], s[10:11]
                                        ; implicit-def: $sgpr12
	s_xor_b64 exec, exec, s[10:11]
	s_cbranch_execnz .LBB23_175
.LBB23_64:
	s_or_b64 exec, exec, s[10:11]
	v_mov_b32_e32 v4, s12
	s_and_saveexec_b64 s[10:11], s[8:9]
.LBB23_65:
	v_lshrrev_b32_e32 v4, 24, v0
	s_movk_i32 s8, 0x80
	v_and_or_b32 v4, v4, s8, v1
.LBB23_66:
	s_or_b64 exec, exec, s[10:11]
.LBB23_67:
	s_or_b64 exec, exec, s[6:7]
	s_mov_b64 s[6:7], 0
	global_store_byte v[2:3], v4, off
.LBB23_68:
	s_and_b64 vcc, exec, s[6:7]
	s_cbranch_vccz .LBB23_78
; %bb.69:
	v_and_b32_e32 v4, 0x7fffffff, v0
	s_mov_b32 s6, 0x43f00000
	v_cmp_gt_u32_e32 vcc, s6, v4
                                        ; implicit-def: $vgpr1
	s_and_saveexec_b64 s[6:7], vcc
	s_xor_b64 s[6:7], exec, s[6:7]
	s_cbranch_execz .LBB23_75
; %bb.70:
	s_mov_b32 s8, 0x3c7fffff
	v_cmp_lt_u32_e32 vcc, s8, v4
                                        ; implicit-def: $vgpr1
	s_and_saveexec_b64 s[8:9], vcc
	s_xor_b64 s[8:9], exec, s[8:9]
; %bb.71:
	v_bfe_u32 v1, v0, 20, 1
	s_mov_b32 s10, 0x407ffff
	v_add3_u32 v1, v0, v1, s10
	v_lshrrev_b32_e32 v4, 20, v1
	v_and_b32_e32 v1, 0xff00000, v1
	s_mov_b32 s10, 0x7f00000
	v_mov_b32_e32 v5, 0x7e
	v_cmp_ne_u32_e32 vcc, s10, v1
	v_cndmask_b32_e32 v1, v5, v4, vcc
; %bb.72:
	s_andn2_saveexec_b64 s[8:9], s[8:9]
; %bb.73:
	s_mov_b32 s10, 0x46800000
	v_add_f32_e64 v1, |v0|, s10
; %bb.74:
	s_or_b64 exec, exec, s[8:9]
                                        ; implicit-def: $vgpr4
.LBB23_75:
	s_andn2_saveexec_b64 s[6:7], s[6:7]
; %bb.76:
	s_mov_b32 s8, 0x7f800000
	v_mov_b32_e32 v1, 0x7e
	v_mov_b32_e32 v5, 0x7f
	v_cmp_lt_u32_e32 vcc, s8, v4
	v_cndmask_b32_e32 v1, v1, v5, vcc
; %bb.77:
	s_or_b64 exec, exec, s[6:7]
	v_lshrrev_b32_e32 v4, 24, v0
	s_movk_i32 s6, 0x80
	v_and_or_b32 v1, v4, s6, v1
	global_store_byte v[2:3], v1, off
.LBB23_78:
	s_mov_b64 s[6:7], 0
.LBB23_79:
	s_andn2_b64 vcc, exec, s[6:7]
	s_cbranch_vccnz .LBB23_89
; %bb.80:
	v_and_b32_e32 v4, 0x7fffffff, v0
	s_mov_b32 s6, 0x47800000
	v_cmp_gt_u32_e32 vcc, s6, v4
                                        ; implicit-def: $vgpr1
	s_and_saveexec_b64 s[6:7], vcc
	s_xor_b64 s[6:7], exec, s[6:7]
	s_cbranch_execz .LBB23_86
; %bb.81:
	s_mov_b32 s8, 0x387fffff
	v_cmp_lt_u32_e32 vcc, s8, v4
                                        ; implicit-def: $vgpr1
	s_and_saveexec_b64 s[8:9], vcc
	s_xor_b64 s[8:9], exec, s[8:9]
; %bb.82:
	v_bfe_u32 v1, v0, 21, 1
	s_mov_b32 s10, 0x80fffff
	v_add3_u32 v1, v0, v1, s10
	v_lshrrev_b32_e32 v1, 21, v1
; %bb.83:
	s_andn2_saveexec_b64 s[8:9], s[8:9]
; %bb.84:
	s_mov_b32 s10, 0x43000000
	v_add_f32_e64 v1, |v0|, s10
; %bb.85:
	s_or_b64 exec, exec, s[8:9]
                                        ; implicit-def: $vgpr4
.LBB23_86:
	s_andn2_saveexec_b64 s[6:7], s[6:7]
; %bb.87:
	s_mov_b32 s8, 0x7f800000
	v_mov_b32_e32 v1, 0x7c
	v_mov_b32_e32 v5, 0x7f
	v_cmp_lt_u32_e32 vcc, s8, v4
	v_cndmask_b32_e32 v1, v1, v5, vcc
; %bb.88:
	s_or_b64 exec, exec, s[6:7]
	v_lshrrev_b32_e32 v4, 24, v0
	s_movk_i32 s6, 0x80
	v_and_or_b32 v1, v4, s6, v1
	global_store_byte v[2:3], v1, off
.LBB23_89:
	s_mov_b64 s[8:9], 0
	s_mov_b64 s[6:7], -1
.LBB23_90:
	s_andn2_b64 vcc, exec, s[8:9]
	s_cbranch_vccnz .LBB23_98
; %bb.91:
	v_mov_b32_e32 v1, 14
	v_cmp_gt_i16_sdwa s[10:11], v23, v1 src0_sel:BYTE_0 src1_sel:DWORD
	s_mov_b64 s[8:9], -1
	s_and_b64 vcc, exec, s[10:11]
	s_cbranch_vccz .LBB23_95
; %bb.92:
	v_mov_b32_e32 v1, 15
	v_cmp_eq_u16_sdwa s[8:9], v23, v1 src0_sel:BYTE_0 src1_sel:DWORD
	s_mov_b64 s[4:5], -1
	s_and_b64 vcc, exec, s[8:9]
	s_cbranch_vccz .LBB23_94
; %bb.93:
	v_bfe_u32 v1, v0, 16, 1
	s_movk_i32 s4, 0x7fff
	v_add3_u32 v1, v0, v1, s4
	v_lshrrev_b32_e32 v1, 16, v1
	v_mov_b32_e32 v4, 0x7fc0
	v_cmp_o_f32_e32 vcc, v0, v0
	v_cndmask_b32_e32 v1, v4, v1, vcc
	global_store_short v[2:3], v1, off
	s_mov_b64 s[6:7], -1
	s_mov_b64 s[4:5], 0
.LBB23_94:
	s_mov_b64 s[8:9], 0
.LBB23_95:
	s_and_b64 vcc, exec, s[8:9]
	s_cbranch_vccz .LBB23_98
; %bb.96:
	v_mov_b32_e32 v1, 11
	v_cmp_eq_u16_sdwa s[8:9], v23, v1 src0_sel:BYTE_0 src1_sel:DWORD
	s_mov_b64 s[4:5], -1
	s_and_b64 vcc, exec, s[8:9]
	s_cbranch_vccz .LBB23_98
; %bb.97:
	v_cmp_neq_f32_e32 vcc, 0, v0
	v_cndmask_b32_e64 v1, 0, 1, vcc
	s_mov_b64 s[6:7], -1
	s_mov_b64 s[4:5], 0
	global_store_byte v[2:3], v1, off
.LBB23_98:
	s_branch .LBB23_25
.LBB23_99:
	v_mov_b32_e32 v1, 5
	v_cmp_lt_i16_sdwa s[8:9], v23, v1 src0_sel:BYTE_0 src1_sel:DWORD
	s_mov_b64 s[6:7], -1
	s_and_b64 vcc, exec, s[8:9]
	s_cbranch_vccnz .LBB23_120
; %bb.100:
	v_mov_b32_e32 v1, 8
	v_cmp_lt_i16_sdwa s[8:9], v23, v1 src0_sel:BYTE_0 src1_sel:DWORD
	s_and_b64 vcc, exec, s[8:9]
	s_cbranch_vccnz .LBB23_110
; %bb.101:
	v_mov_b32_e32 v1, 9
	v_cmp_lt_i16_sdwa s[8:9], v23, v1 src0_sel:BYTE_0 src1_sel:DWORD
	s_and_b64 vcc, exec, s[8:9]
	s_cbranch_vccnz .LBB23_107
; %bb.102:
	v_cmp_gt_i16_sdwa s[8:9], v23, v1 src0_sel:BYTE_0 src1_sel:DWORD
	s_and_b64 vcc, exec, s[8:9]
	s_cbranch_vccz .LBB23_104
; %bb.103:
	v_mov_b32_e32 v6, 0
	v_cvt_f64_f32_e32 v[4:5], v0
	v_mov_b32_e32 v7, v6
	global_store_dwordx4 v[2:3], v[4:7], off
	s_mov_b64 s[6:7], 0
.LBB23_104:
	s_andn2_b64 vcc, exec, s[6:7]
	s_cbranch_vccnz .LBB23_106
; %bb.105:
	v_mov_b32_e32 v1, 0
	global_store_dwordx2 v[2:3], v[0:1], off
.LBB23_106:
	s_mov_b64 s[6:7], 0
.LBB23_107:
	s_andn2_b64 vcc, exec, s[6:7]
	s_cbranch_vccnz .LBB23_109
; %bb.108:
	v_cvt_f16_f32_e32 v1, v0
	global_store_dword v[2:3], v1, off
.LBB23_109:
	s_mov_b64 s[6:7], 0
.LBB23_110:
	s_andn2_b64 vcc, exec, s[6:7]
	s_cbranch_vccnz .LBB23_119
; %bb.111:
	v_mov_b32_e32 v1, 6
	v_cmp_lt_i16_sdwa s[8:9], v23, v1 src0_sel:BYTE_0 src1_sel:DWORD
	s_mov_b64 s[6:7], -1
	s_and_b64 vcc, exec, s[8:9]
	s_cbranch_vccnz .LBB23_117
; %bb.112:
	v_cmp_gt_i16_sdwa s[8:9], v23, v1 src0_sel:BYTE_0 src1_sel:DWORD
	s_and_b64 vcc, exec, s[8:9]
	s_cbranch_vccz .LBB23_114
; %bb.113:
	v_cvt_f64_f32_e32 v[4:5], v0
	global_store_dwordx2 v[2:3], v[4:5], off
	s_mov_b64 s[6:7], 0
.LBB23_114:
	s_andn2_b64 vcc, exec, s[6:7]
	s_cbranch_vccnz .LBB23_116
; %bb.115:
	global_store_dword v[2:3], v0, off
.LBB23_116:
	s_mov_b64 s[6:7], 0
.LBB23_117:
	s_andn2_b64 vcc, exec, s[6:7]
	s_cbranch_vccnz .LBB23_119
; %bb.118:
	v_cvt_f16_f32_e32 v1, v0
	global_store_short v[2:3], v1, off
.LBB23_119:
	s_mov_b64 s[6:7], 0
.LBB23_120:
	s_andn2_b64 vcc, exec, s[6:7]
	s_cbranch_vccnz .LBB23_136
; %bb.121:
	v_mov_b32_e32 v1, 2
	v_cmp_lt_i16_sdwa s[8:9], v23, v1 src0_sel:BYTE_0 src1_sel:DWORD
	s_mov_b64 s[6:7], -1
	s_and_b64 vcc, exec, s[8:9]
	s_cbranch_vccnz .LBB23_131
; %bb.122:
	v_mov_b32_e32 v1, 3
	v_cmp_lt_i16_sdwa s[8:9], v23, v1 src0_sel:BYTE_0 src1_sel:DWORD
	s_and_b64 vcc, exec, s[8:9]
	s_cbranch_vccnz .LBB23_128
; %bb.123:
	v_cmp_gt_i16_sdwa s[8:9], v23, v1 src0_sel:BYTE_0 src1_sel:DWORD
	s_and_b64 vcc, exec, s[8:9]
	s_cbranch_vccz .LBB23_125
; %bb.124:
	v_trunc_f32_e32 v1, v0
	s_mov_b32 s6, 0x2f800000
	v_mul_f32_e64 v4, |v1|, s6
	v_floor_f32_e32 v4, v4
	s_mov_b32 s6, 0xcf800000
	v_cvt_u32_f32_e32 v5, v4
	v_fma_f32 v4, v4, s6, |v1|
	v_cvt_u32_f32_e32 v4, v4
	v_ashrrev_i32_e32 v1, 31, v1
	v_xor_b32_e32 v5, v5, v1
	s_mov_b64 s[6:7], 0
	v_xor_b32_e32 v4, v4, v1
	v_sub_co_u32_e32 v4, vcc, v4, v1
	v_subb_co_u32_e32 v5, vcc, v5, v1, vcc
	global_store_dwordx2 v[2:3], v[4:5], off
.LBB23_125:
	s_andn2_b64 vcc, exec, s[6:7]
	s_cbranch_vccnz .LBB23_127
; %bb.126:
	v_cvt_i32_f32_e32 v1, v0
	global_store_dword v[2:3], v1, off
.LBB23_127:
	s_mov_b64 s[6:7], 0
.LBB23_128:
	s_andn2_b64 vcc, exec, s[6:7]
	s_cbranch_vccnz .LBB23_130
; %bb.129:
	v_cvt_i32_f32_e32 v1, v0
	global_store_short v[2:3], v1, off
.LBB23_130:
	s_mov_b64 s[6:7], 0
.LBB23_131:
	s_andn2_b64 vcc, exec, s[6:7]
	s_cbranch_vccnz .LBB23_136
; %bb.132:
	v_mov_b32_e32 v1, 0
	v_cmp_gt_i16_sdwa s[8:9], v23, v1 src0_sel:BYTE_0 src1_sel:DWORD
	s_mov_b64 s[6:7], -1
	s_and_b64 vcc, exec, s[8:9]
	s_cbranch_vccz .LBB23_134
; %bb.133:
	v_cvt_i32_f32_e32 v1, v0
	s_mov_b64 s[6:7], 0
	global_store_byte v[2:3], v1, off
.LBB23_134:
	s_andn2_b64 vcc, exec, s[6:7]
	s_cbranch_vccnz .LBB23_136
; %bb.135:
	v_trunc_f32_e32 v0, v0
	s_mov_b32 s6, 0x2f800000
	v_mul_f32_e64 v1, |v0|, s6
	v_floor_f32_e32 v1, v1
	s_mov_b32 s6, 0xcf800000
	v_fma_f32 v1, v1, s6, |v0|
	v_cvt_u32_f32_e32 v1, v1
	v_ashrrev_i32_e32 v0, 31, v0
	v_xor_b32_e32 v1, v1, v0
	v_sub_u32_e32 v0, v1, v0
	global_store_byte v[2:3], v0, off
.LBB23_136:
	s_branch .LBB23_26
.LBB23_137:
	s_mov_b64 s[6:7], 0
                                        ; implicit-def: $vgpr26
.LBB23_138:
	s_and_b64 s[62:63], s[4:5], exec
	s_orn2_b64 s[4:5], s[6:7], exec
.LBB23_139:
	s_or_b64 exec, exec, s[64:65]
	s_mov_b64 s[6:7], 0
                                        ; implicit-def: $vgpr4
                                        ; implicit-def: $vgpr2_vgpr3
                                        ; implicit-def: $vgpr0
	s_and_saveexec_b64 s[64:65], s[4:5]
	s_cbranch_execz .LBB23_147
; %bb.140:
	v_cmp_gt_i32_e32 vcc, s74, v26
	s_mov_b64 s[8:9], -1
	s_mov_b64 s[66:67], s[62:63]
	s_and_saveexec_b64 s[68:69], vcc
	s_cbranch_execz .LBB23_286
; %bb.141:
	s_andn2_b64 vcc, exec, s[50:51]
	s_cbranch_vccnz .LBB23_150
; %bb.142:
	s_mov_b32 s24, 0
	s_andn2_b64 vcc, exec, s[60:61]
	v_mov_b32_e32 v2, 0
	v_mov_b32_e32 v24, 0
	s_cbranch_vccnz .LBB23_156
; %bb.143:
	s_add_i32 s66, s77, 1
	s_cmp_eq_u32 s76, 2
	s_cbranch_scc1 .LBB23_151
; %bb.144:
	s_and_b32 s24, s66, 28
	s_mov_b32 s25, 0
	v_mov_b32_e32 v24, 0
	s_mov_b64 s[26:27], s[34:35]
	s_mov_b64 s[30:31], s[58:59]
	v_mov_b32_e32 v0, v26
	v_mov_b32_e32 v2, 0
.LBB23_145:                             ; =>This Inner Loop Header: Depth=1
	s_load_dwordx8 s[12:19], s[26:27], 0x4
	s_load_dwordx4 s[20:23], s[26:27], 0x24
	s_load_dwordx8 s[4:11], s[30:31], 0x0
	s_add_u32 s26, s26, 48
	s_addc_u32 s27, s27, 0
	s_waitcnt lgkmcnt(0)
	v_mul_hi_u32 v1, s13, v0
	v_add_u32_e32 v1, v0, v1
	v_lshrrev_b32_e32 v1, s14, v1
	v_mul_lo_u32 v3, v1, s12
	v_mul_hi_u32 v4, s16, v1
	v_sub_u32_e32 v0, v0, v3
	v_add_u32_e32 v3, v1, v4
	v_lshrrev_b32_e32 v3, s17, v3
	v_mul_lo_u32 v5, v3, s15
	v_mul_hi_u32 v6, s19, v3
	v_sub_u32_e32 v1, v1, v5
	v_add_u32_e32 v5, v3, v6
	v_mul_lo_u32 v4, v0, s5
	v_mul_lo_u32 v0, v0, s4
	;; [unrolled: 1-line block ×4, first 2 shown]
	v_lshrrev_b32_e32 v5, s20, v5
	v_add3_u32 v1, v0, v24, v1
	v_add3_u32 v2, v4, v2, v6
	v_mul_lo_u32 v0, v5, s18
	v_mul_hi_u32 v4, s22, v5
	v_sub_u32_e32 v0, v3, v0
	v_add_u32_e32 v3, v5, v4
	v_mul_lo_u32 v4, v0, s8
	v_mul_lo_u32 v6, v0, s9
	v_lshrrev_b32_e32 v0, s23, v3
	s_add_i32 s25, s25, 4
	v_mul_lo_u32 v3, v0, s21
	s_add_u32 s30, s30, 32
	v_sub_u32_e32 v3, v5, v3
	s_addc_u32 s31, s31, 0
	v_mul_lo_u32 v5, v3, s10
	v_mul_lo_u32 v3, v3, s11
	s_cmp_eq_u32 s24, s25
	v_add3_u32 v2, v6, v2, v3
	v_add3_u32 v24, v4, v1, v5
	s_cbranch_scc0 .LBB23_145
; %bb.146:
	v_mov_b32_e32 v25, v2
	s_branch .LBB23_152
.LBB23_147:
	s_or_b64 exec, exec, s[64:65]
	s_mov_b64 s[4:5], 0
	s_and_saveexec_b64 s[8:9], s[62:63]
	s_cbranch_execnz .LBB23_530
.LBB23_148:
	s_or_b64 exec, exec, s[8:9]
	s_and_saveexec_b64 s[8:9], s[68:69]
	s_xor_b64 s[8:9], exec, s[8:9]
	s_cbranch_execz .LBB23_531
.LBB23_149:
	v_cmp_neq_f32_e32 vcc, 0, v0
	v_cndmask_b32_e64 v1, 0, 1, vcc
	global_store_byte v[2:3], v1, off
	s_or_b64 exec, exec, s[8:9]
	s_and_saveexec_b64 s[8:9], s[6:7]
	s_xor_b64 s[6:7], exec, s[8:9]
	s_cbranch_execz .LBB23_569
	s_branch .LBB23_532
.LBB23_150:
                                        ; implicit-def: $vgpr2
                                        ; implicit-def: $vgpr24
	s_branch .LBB23_157
.LBB23_151:
	s_mov_b32 s25, s24
	v_pk_mov_b32 v[24:25], s[24:25], s[24:25] op_sel:[0,1]
                                        ; implicit-def: $vgpr2
	v_mov_b32_e32 v0, v26
.LBB23_152:
	s_and_b32 s8, s66, 3
	s_cmp_eq_u32 s8, 0
	s_cbranch_scc1 .LBB23_156
; %bb.153:
	s_lshl_b32 s4, s24, 3
	s_add_u32 s4, s4, s34
	s_addc_u32 s5, s35, 0
	s_add_u32 s4, s4, 0xc4
	s_addc_u32 s5, s5, 0
	s_mul_i32 s6, s24, 12
	s_add_u32 s6, s34, s6
	s_addc_u32 s7, s35, 0
.LBB23_154:                             ; =>This Inner Loop Header: Depth=1
	s_load_dwordx2 s[10:11], s[6:7], 0x4
	s_load_dword s9, s[6:7], 0xc
	s_load_dwordx2 s[12:13], s[4:5], 0x0
	s_add_u32 s6, s6, 12
	s_addc_u32 s7, s7, 0
	s_waitcnt lgkmcnt(0)
	v_mul_hi_u32 v1, s11, v0
	v_add_u32_e32 v1, v0, v1
	v_lshrrev_b32_e32 v1, s9, v1
	v_mul_lo_u32 v3, v1, s10
	v_mov_b32_e32 v2, v25
	s_add_u32 s4, s4, 8
	v_sub_u32_e32 v4, v0, v3
	s_addc_u32 s5, s5, 0
	s_add_i32 s8, s8, -1
	v_mad_u64_u32 v[2:3], s[10:11], v4, s13, v[2:3]
	v_mad_u64_u32 v[24:25], s[10:11], v4, s12, v[24:25]
	s_cmp_lg_u32 s8, 0
	v_mov_b32_e32 v0, v1
	v_mov_b32_e32 v25, v2
	s_cbranch_scc1 .LBB23_154
; %bb.155:
	v_mov_b32_e32 v2, v25
.LBB23_156:
	s_cbranch_execnz .LBB23_159
.LBB23_157:
	s_waitcnt lgkmcnt(0)
	v_mul_hi_u32 v0, s45, v26
	v_add_u32_e32 v0, v26, v0
	v_lshrrev_b32_e32 v0, s46, v0
	v_mul_lo_u32 v1, v0, s44
	v_sub_u32_e32 v1, v26, v1
	v_mul_lo_u32 v2, v1, s41
	s_andn2_b64 vcc, exec, s[56:57]
	v_mul_lo_u32 v24, v1, s40
	s_cbranch_vccnz .LBB23_159
; %bb.158:
	v_mul_hi_u32 v1, s54, v0
	v_add_u32_e32 v1, v0, v1
	v_lshrrev_b32_e32 v1, s55, v1
	v_mul_lo_u32 v1, v1, s47
	v_sub_u32_e32 v0, v0, v1
	v_mad_u64_u32 v[24:25], s[4:5], v0, s42, v[24:25]
	v_mad_u64_u32 v[2:3], s[4:5], v0, s43, v[2:3]
.LBB23_159:
	s_waitcnt lgkmcnt(0)
	v_mov_b32_e32 v0, s38
	v_mov_b32_e32 v1, s39
	;; [unrolled: 1-line block ×3, first 2 shown]
	s_getpc_b64 s[4:5]
	s_add_u32 s4, s4, _ZN2at6native6invokeIZZZNS0_12_GLOBAL__N_119airy_ai_kernel_cudaERNS_18TensorIteratorBaseEENKUlvE_clEvENKUlvE0_clEvEUlfE_j15function_traitsIS7_EEENT1_11result_typeERKT_PrKPcPKT0_PKN3c1010ScalarTypeEi@rel32@lo+4
	s_addc_u32 s5, s5, _ZN2at6native6invokeIZZZNS0_12_GLOBAL__N_119airy_ai_kernel_cudaERNS_18TensorIteratorBaseEENKUlvE_clEvENKUlvE0_clEvEUlfE_j15function_traitsIS7_EEENT1_11result_typeERKT_PrKPcPKT0_PKN3c1010ScalarTypeEi@rel32@hi+12
	s_swappc_b64 s[30:31], s[4:5]
	v_mov_b32_e32 v1, s37
	v_add_co_u32_e32 v2, vcc, s36, v24
	v_addc_co_u32_e32 v3, vcc, 0, v1, vcc
	v_mov_b32_e32 v1, 11
	v_cmp_lt_i16_sdwa s[4:5], v23, v1 src0_sel:BYTE_0 src1_sel:DWORD
	s_and_b64 vcc, exec, s[4:5]
	s_cbranch_vccnz .LBB23_166
; %bb.160:
	v_mov_b32_e32 v1, 25
	v_cmp_gt_i16_sdwa s[4:5], v23, v1 src0_sel:BYTE_0 src1_sel:DWORD
	s_and_b64 vcc, exec, s[4:5]
	s_cbranch_vccz .LBB23_169
; %bb.161:
	v_mov_b32_e32 v1, 28
	v_cmp_gt_i16_sdwa s[4:5], v23, v1 src0_sel:BYTE_0 src1_sel:DWORD
	s_and_b64 vcc, exec, s[4:5]
	s_cbranch_vccz .LBB23_170
	;; [unrolled: 5-line block ×4, first 2 shown]
; %bb.164:
	v_mov_b32_e32 v1, 46
	v_cmp_eq_u16_sdwa s[6:7], v23, v1 src0_sel:BYTE_0 src1_sel:DWORD
	s_mov_b64 s[8:9], 0
	s_mov_b64 s[4:5], -1
	s_and_b64 vcc, exec, s[6:7]
	s_mov_b64 s[6:7], 0
	s_cbranch_vccz .LBB23_177
; %bb.165:
	v_bfe_u32 v1, v0, 16, 1
	s_movk_i32 s4, 0x7fff
	v_add3_u32 v1, v0, v1, s4
	v_lshrrev_b32_e32 v1, 16, v1
	v_mov_b32_e32 v4, 0x7fc0
	v_cmp_o_f32_e32 vcc, v0, v0
	v_cndmask_b32_e32 v1, v4, v1, vcc
	global_store_dword v[2:3], v1, off
	s_mov_b64 s[6:7], -1
	s_mov_b64 s[4:5], 0
	s_branch .LBB23_177
.LBB23_166:
	s_mov_b64 s[6:7], 0
	s_mov_b64 s[4:5], s[62:63]
	s_cbranch_execnz .LBB23_246
.LBB23_167:
	s_andn2_b64 vcc, exec, s[6:7]
	s_cbranch_vccnz .LBB23_284
.LBB23_168:
	v_add_u32_e32 v26, 0x80, v26
	s_mov_b64 s[6:7], -1
	s_branch .LBB23_285
.LBB23_169:
	s_mov_b64 s[8:9], -1
	s_mov_b64 s[6:7], 0
	s_mov_b64 s[4:5], s[62:63]
	s_branch .LBB23_204
.LBB23_170:
	s_mov_b64 s[8:9], -1
	s_mov_b64 s[6:7], 0
	s_mov_b64 s[4:5], s[62:63]
	s_branch .LBB23_187
.LBB23_171:
	s_or_saveexec_b64 s[10:11], s[10:11]
                                        ; implicit-def: $sgpr12
	s_xor_b64 exec, exec, s[10:11]
	s_cbranch_execz .LBB23_52
.LBB23_172:
	s_mov_b32 s12, 0x46000000
	v_add_f32_e64 v1, |v0|, s12
	v_and_b32_e32 v1, 0xff, v1
	v_cmp_ne_u32_e32 vcc, 0, v1
	s_andn2_b64 s[8:9], s[8:9], exec
	s_and_b64 s[14:15], vcc, exec
	s_mov_b32 s12, 0
	s_or_b64 s[8:9], s[8:9], s[14:15]
	s_or_b64 exec, exec, s[10:11]
	v_mov_b32_e32 v4, s12
	s_and_saveexec_b64 s[10:11], s[8:9]
	s_cbranch_execnz .LBB23_53
	s_branch .LBB23_54
.LBB23_173:
	s_mov_b64 s[8:9], -1
	s_mov_b64 s[6:7], 0
	s_mov_b64 s[4:5], s[62:63]
	s_branch .LBB23_183
.LBB23_174:
	s_or_saveexec_b64 s[10:11], s[10:11]
                                        ; implicit-def: $sgpr12
	s_xor_b64 exec, exec, s[10:11]
	s_cbranch_execz .LBB23_64
.LBB23_175:
	s_mov_b32 s12, 0x42800000
	v_add_f32_e64 v1, |v0|, s12
	v_and_b32_e32 v1, 0xff, v1
	v_cmp_ne_u32_e32 vcc, 0, v1
	s_andn2_b64 s[8:9], s[8:9], exec
	s_and_b64 s[14:15], vcc, exec
	s_mov_b32 s12, 0
	s_or_b64 s[8:9], s[8:9], s[14:15]
	s_or_b64 exec, exec, s[10:11]
	v_mov_b32_e32 v4, s12
	s_and_saveexec_b64 s[10:11], s[8:9]
	s_cbranch_execnz .LBB23_65
	s_branch .LBB23_66
.LBB23_176:
	s_mov_b64 s[8:9], -1
	s_mov_b64 s[6:7], 0
	s_mov_b64 s[4:5], s[62:63]
.LBB23_177:
	s_and_b64 vcc, exec, s[8:9]
	s_cbranch_vccz .LBB23_182
; %bb.178:
	v_mov_b32_e32 v1, 44
	v_cmp_eq_u16_sdwa s[8:9], v23, v1 src0_sel:BYTE_0 src1_sel:DWORD
	s_mov_b64 s[4:5], -1
	s_and_b64 vcc, exec, s[8:9]
	s_cbranch_vccz .LBB23_182
; %bb.179:
	v_bfe_u32 v1, v0, 23, 8
	s_movk_i32 s4, 0xff
	v_cmp_ne_u32_e32 vcc, s4, v1
	v_mov_b32_e32 v4, 0xff
	s_and_saveexec_b64 s[6:7], vcc
; %bb.180:
	s_mov_b32 s4, 0x3fffff
	v_and_b32_e32 v5, 0x400000, v0
	v_and_or_b32 v1, v0, s4, v1
	v_cmp_ne_u32_e32 vcc, 0, v5
	v_cmp_ne_u32_e64 s[4:5], 0, v1
	s_and_b64 s[4:5], vcc, s[4:5]
	v_lshrrev_b32_e32 v4, 23, v0
	v_cndmask_b32_e64 v1, 0, 1, s[4:5]
	v_add_u32_e32 v4, v4, v1
; %bb.181:
	s_or_b64 exec, exec, s[6:7]
	s_mov_b64 s[6:7], -1
	s_mov_b64 s[4:5], 0
	global_store_byte v[2:3], v4, off
.LBB23_182:
	s_mov_b64 s[8:9], 0
.LBB23_183:
	s_and_b64 vcc, exec, s[8:9]
	s_cbranch_vccz .LBB23_186
; %bb.184:
	v_mov_b32_e32 v1, 29
	v_cmp_eq_u16_sdwa s[8:9], v23, v1 src0_sel:BYTE_0 src1_sel:DWORD
	s_mov_b64 s[4:5], -1
	s_and_b64 vcc, exec, s[8:9]
	s_cbranch_vccz .LBB23_186
; %bb.185:
	v_trunc_f32_e32 v1, v0
	v_mul_f32_e32 v4, 0x2f800000, v1
	v_floor_f32_e32 v4, v4
	v_fmac_f32_e32 v1, 0xcf800000, v4
	v_cvt_u32_f32_e32 v5, v4
	v_cvt_u32_f32_e32 v4, v1
	s_mov_b64 s[6:7], -1
	s_mov_b64 s[4:5], 0
	s_mov_b64 s[8:9], 0
	global_store_dwordx2 v[2:3], v[4:5], off
	s_branch .LBB23_187
.LBB23_186:
	s_mov_b64 s[8:9], 0
.LBB23_187:
	s_and_b64 vcc, exec, s[8:9]
	s_cbranch_vccz .LBB23_203
; %bb.188:
	v_mov_b32_e32 v1, 27
	v_cmp_lt_i16_sdwa s[8:9], v23, v1 src0_sel:BYTE_0 src1_sel:DWORD
	s_mov_b64 s[6:7], -1
	s_and_b64 vcc, exec, s[8:9]
	s_cbranch_vccnz .LBB23_194
; %bb.189:
	v_cmp_gt_i16_sdwa s[8:9], v23, v1 src0_sel:BYTE_0 src1_sel:DWORD
	v_cvt_u32_f32_e32 v1, v0
	s_and_b64 vcc, exec, s[8:9]
	s_cbranch_vccz .LBB23_191
; %bb.190:
	s_mov_b64 s[6:7], 0
	global_store_dword v[2:3], v1, off
.LBB23_191:
	s_andn2_b64 vcc, exec, s[6:7]
	s_cbranch_vccnz .LBB23_193
; %bb.192:
	global_store_short v[2:3], v1, off
.LBB23_193:
	s_mov_b64 s[6:7], 0
.LBB23_194:
	s_andn2_b64 vcc, exec, s[6:7]
	s_cbranch_vccnz .LBB23_202
; %bb.195:
	v_and_b32_e32 v1, 0x7fffffff, v0
	s_mov_b32 s6, 0x43800000
	v_cmp_gt_u32_e32 vcc, s6, v1
	v_mov_b32_e32 v4, 0x80
	s_and_saveexec_b64 s[6:7], vcc
	s_cbranch_execz .LBB23_201
; %bb.196:
	s_mov_b32 s8, 0x3bffffff
	v_cmp_lt_u32_e32 vcc, s8, v1
	s_mov_b64 s[8:9], 0
                                        ; implicit-def: $vgpr1
	s_and_saveexec_b64 s[10:11], vcc
	s_xor_b64 s[10:11], exec, s[10:11]
	s_cbranch_execz .LBB23_314
; %bb.197:
	v_bfe_u32 v1, v0, 20, 1
	s_mov_b32 s12, 0x487ffff
	v_add3_u32 v1, v0, v1, s12
	s_mov_b64 s[8:9], exec
	v_lshrrev_b32_e32 v1, 20, v1
	s_or_saveexec_b64 s[10:11], s[10:11]
                                        ; implicit-def: $sgpr12
	s_xor_b64 exec, exec, s[10:11]
	s_cbranch_execnz .LBB23_315
.LBB23_198:
	s_or_b64 exec, exec, s[10:11]
	v_mov_b32_e32 v4, s12
	s_and_saveexec_b64 s[10:11], s[8:9]
.LBB23_199:
	v_lshrrev_b32_e32 v4, 24, v0
	s_movk_i32 s8, 0x80
	v_and_or_b32 v4, v4, s8, v1
.LBB23_200:
	s_or_b64 exec, exec, s[10:11]
.LBB23_201:
	s_or_b64 exec, exec, s[6:7]
	global_store_byte v[2:3], v4, off
.LBB23_202:
	s_mov_b64 s[6:7], -1
.LBB23_203:
	s_mov_b64 s[8:9], 0
.LBB23_204:
	s_and_b64 vcc, exec, s[8:9]
	s_cbranch_vccz .LBB23_245
; %bb.205:
	v_mov_b32_e32 v1, 22
	v_cmp_gt_i16_sdwa s[10:11], v23, v1 src0_sel:BYTE_0 src1_sel:DWORD
	s_mov_b64 s[8:9], -1
	s_and_b64 vcc, exec, s[10:11]
	s_cbranch_vccz .LBB23_237
; %bb.206:
	v_mov_b32_e32 v1, 24
	v_cmp_lt_i16_sdwa s[8:9], v23, v1 src0_sel:BYTE_0 src1_sel:DWORD
	s_mov_b64 s[6:7], -1
	s_and_b64 vcc, exec, s[8:9]
	s_cbranch_vccnz .LBB23_226
; %bb.207:
	v_cmp_gt_i16_sdwa s[8:9], v23, v1 src0_sel:BYTE_0 src1_sel:DWORD
	s_and_b64 vcc, exec, s[8:9]
	s_cbranch_vccz .LBB23_215
; %bb.208:
	v_and_b32_e32 v1, 0x7fffffff, v0
	s_mov_b32 s6, 0x47800000
	v_cmp_gt_u32_e32 vcc, s6, v1
	v_mov_b32_e32 v4, 0x80
	s_and_saveexec_b64 s[6:7], vcc
	s_cbranch_execz .LBB23_214
; %bb.209:
	s_mov_b32 s8, 0x37ffffff
	v_cmp_lt_u32_e32 vcc, s8, v1
	s_mov_b64 s[8:9], 0
                                        ; implicit-def: $vgpr1
	s_and_saveexec_b64 s[10:11], vcc
	s_xor_b64 s[10:11], exec, s[10:11]
	s_cbranch_execz .LBB23_317
; %bb.210:
	v_bfe_u32 v1, v0, 21, 1
	s_mov_b32 s12, 0x88fffff
	v_add3_u32 v1, v0, v1, s12
	s_mov_b64 s[8:9], exec
	v_lshrrev_b32_e32 v1, 21, v1
	s_or_saveexec_b64 s[10:11], s[10:11]
                                        ; implicit-def: $sgpr12
	s_xor_b64 exec, exec, s[10:11]
	s_cbranch_execnz .LBB23_318
.LBB23_211:
	s_or_b64 exec, exec, s[10:11]
	v_mov_b32_e32 v4, s12
	s_and_saveexec_b64 s[10:11], s[8:9]
.LBB23_212:
	v_lshrrev_b32_e32 v4, 24, v0
	s_movk_i32 s8, 0x80
	v_and_or_b32 v4, v4, s8, v1
.LBB23_213:
	s_or_b64 exec, exec, s[10:11]
.LBB23_214:
	s_or_b64 exec, exec, s[6:7]
	s_mov_b64 s[6:7], 0
	global_store_byte v[2:3], v4, off
.LBB23_215:
	s_and_b64 vcc, exec, s[6:7]
	s_cbranch_vccz .LBB23_225
; %bb.216:
	v_and_b32_e32 v4, 0x7fffffff, v0
	s_mov_b32 s6, 0x43f00000
	v_cmp_gt_u32_e32 vcc, s6, v4
                                        ; implicit-def: $vgpr1
	s_and_saveexec_b64 s[6:7], vcc
	s_xor_b64 s[6:7], exec, s[6:7]
	s_cbranch_execz .LBB23_222
; %bb.217:
	s_mov_b32 s8, 0x3c7fffff
	v_cmp_lt_u32_e32 vcc, s8, v4
                                        ; implicit-def: $vgpr1
	s_and_saveexec_b64 s[8:9], vcc
	s_xor_b64 s[8:9], exec, s[8:9]
; %bb.218:
	v_bfe_u32 v1, v0, 20, 1
	s_mov_b32 s10, 0x407ffff
	v_add3_u32 v1, v0, v1, s10
	v_lshrrev_b32_e32 v4, 20, v1
	v_and_b32_e32 v1, 0xff00000, v1
	s_mov_b32 s10, 0x7f00000
	v_mov_b32_e32 v5, 0x7e
	v_cmp_ne_u32_e32 vcc, s10, v1
	v_cndmask_b32_e32 v1, v5, v4, vcc
; %bb.219:
	s_andn2_saveexec_b64 s[8:9], s[8:9]
; %bb.220:
	s_mov_b32 s10, 0x46800000
	v_add_f32_e64 v1, |v0|, s10
; %bb.221:
	s_or_b64 exec, exec, s[8:9]
                                        ; implicit-def: $vgpr4
.LBB23_222:
	s_andn2_saveexec_b64 s[6:7], s[6:7]
; %bb.223:
	s_mov_b32 s8, 0x7f800000
	v_mov_b32_e32 v1, 0x7e
	v_mov_b32_e32 v5, 0x7f
	v_cmp_lt_u32_e32 vcc, s8, v4
	v_cndmask_b32_e32 v1, v1, v5, vcc
; %bb.224:
	s_or_b64 exec, exec, s[6:7]
	v_lshrrev_b32_e32 v4, 24, v0
	s_movk_i32 s6, 0x80
	v_and_or_b32 v1, v4, s6, v1
	global_store_byte v[2:3], v1, off
.LBB23_225:
	s_mov_b64 s[6:7], 0
.LBB23_226:
	s_andn2_b64 vcc, exec, s[6:7]
	s_cbranch_vccnz .LBB23_236
; %bb.227:
	v_and_b32_e32 v4, 0x7fffffff, v0
	s_mov_b32 s6, 0x47800000
	v_cmp_gt_u32_e32 vcc, s6, v4
                                        ; implicit-def: $vgpr1
	s_and_saveexec_b64 s[6:7], vcc
	s_xor_b64 s[6:7], exec, s[6:7]
	s_cbranch_execz .LBB23_233
; %bb.228:
	s_mov_b32 s8, 0x387fffff
	v_cmp_lt_u32_e32 vcc, s8, v4
                                        ; implicit-def: $vgpr1
	s_and_saveexec_b64 s[8:9], vcc
	s_xor_b64 s[8:9], exec, s[8:9]
; %bb.229:
	v_bfe_u32 v1, v0, 21, 1
	s_mov_b32 s10, 0x80fffff
	v_add3_u32 v1, v0, v1, s10
	v_lshrrev_b32_e32 v1, 21, v1
; %bb.230:
	s_andn2_saveexec_b64 s[8:9], s[8:9]
; %bb.231:
	s_mov_b32 s10, 0x43000000
	v_add_f32_e64 v1, |v0|, s10
; %bb.232:
	s_or_b64 exec, exec, s[8:9]
                                        ; implicit-def: $vgpr4
.LBB23_233:
	s_andn2_saveexec_b64 s[6:7], s[6:7]
; %bb.234:
	s_mov_b32 s8, 0x7f800000
	v_mov_b32_e32 v1, 0x7c
	v_mov_b32_e32 v5, 0x7f
	v_cmp_lt_u32_e32 vcc, s8, v4
	v_cndmask_b32_e32 v1, v1, v5, vcc
; %bb.235:
	s_or_b64 exec, exec, s[6:7]
	v_lshrrev_b32_e32 v4, 24, v0
	s_movk_i32 s6, 0x80
	v_and_or_b32 v1, v4, s6, v1
	global_store_byte v[2:3], v1, off
.LBB23_236:
	s_mov_b64 s[8:9], 0
	s_mov_b64 s[6:7], -1
.LBB23_237:
	s_andn2_b64 vcc, exec, s[8:9]
	s_cbranch_vccnz .LBB23_245
; %bb.238:
	v_mov_b32_e32 v1, 14
	v_cmp_gt_i16_sdwa s[10:11], v23, v1 src0_sel:BYTE_0 src1_sel:DWORD
	s_mov_b64 s[8:9], -1
	s_and_b64 vcc, exec, s[10:11]
	s_cbranch_vccz .LBB23_242
; %bb.239:
	v_mov_b32_e32 v1, 15
	v_cmp_eq_u16_sdwa s[8:9], v23, v1 src0_sel:BYTE_0 src1_sel:DWORD
	s_mov_b64 s[4:5], -1
	s_and_b64 vcc, exec, s[8:9]
	s_cbranch_vccz .LBB23_241
; %bb.240:
	v_bfe_u32 v1, v0, 16, 1
	s_movk_i32 s4, 0x7fff
	v_add3_u32 v1, v0, v1, s4
	v_lshrrev_b32_e32 v1, 16, v1
	v_mov_b32_e32 v4, 0x7fc0
	v_cmp_o_f32_e32 vcc, v0, v0
	v_cndmask_b32_e32 v1, v4, v1, vcc
	global_store_short v[2:3], v1, off
	s_mov_b64 s[6:7], -1
	s_mov_b64 s[4:5], 0
.LBB23_241:
	s_mov_b64 s[8:9], 0
.LBB23_242:
	s_and_b64 vcc, exec, s[8:9]
	s_cbranch_vccz .LBB23_245
; %bb.243:
	v_mov_b32_e32 v1, 11
	v_cmp_eq_u16_sdwa s[8:9], v23, v1 src0_sel:BYTE_0 src1_sel:DWORD
	s_mov_b64 s[4:5], -1
	s_and_b64 vcc, exec, s[8:9]
	s_cbranch_vccz .LBB23_245
; %bb.244:
	v_cmp_neq_f32_e32 vcc, 0, v0
	v_cndmask_b32_e64 v1, 0, 1, vcc
	s_mov_b64 s[6:7], -1
	s_mov_b64 s[4:5], 0
	global_store_byte v[2:3], v1, off
.LBB23_245:
	s_branch .LBB23_167
.LBB23_246:
	v_mov_b32_e32 v1, 5
	v_cmp_lt_i16_sdwa s[8:9], v23, v1 src0_sel:BYTE_0 src1_sel:DWORD
	s_mov_b64 s[6:7], -1
	s_and_b64 vcc, exec, s[8:9]
	s_cbranch_vccnz .LBB23_267
; %bb.247:
	v_mov_b32_e32 v1, 8
	v_cmp_lt_i16_sdwa s[8:9], v23, v1 src0_sel:BYTE_0 src1_sel:DWORD
	s_and_b64 vcc, exec, s[8:9]
	s_cbranch_vccnz .LBB23_257
; %bb.248:
	v_mov_b32_e32 v1, 9
	v_cmp_lt_i16_sdwa s[8:9], v23, v1 src0_sel:BYTE_0 src1_sel:DWORD
	s_and_b64 vcc, exec, s[8:9]
	s_cbranch_vccnz .LBB23_254
; %bb.249:
	v_cmp_gt_i16_sdwa s[8:9], v23, v1 src0_sel:BYTE_0 src1_sel:DWORD
	s_and_b64 vcc, exec, s[8:9]
	s_cbranch_vccz .LBB23_251
; %bb.250:
	v_mov_b32_e32 v6, 0
	v_cvt_f64_f32_e32 v[4:5], v0
	v_mov_b32_e32 v7, v6
	s_mov_b64 s[6:7], 0
	global_store_dwordx4 v[2:3], v[4:7], off
.LBB23_251:
	s_andn2_b64 vcc, exec, s[6:7]
	s_cbranch_vccnz .LBB23_253
; %bb.252:
	v_mov_b32_e32 v1, 0
	global_store_dwordx2 v[2:3], v[0:1], off
.LBB23_253:
	s_mov_b64 s[6:7], 0
.LBB23_254:
	s_andn2_b64 vcc, exec, s[6:7]
	s_cbranch_vccnz .LBB23_256
; %bb.255:
	v_cvt_f16_f32_e32 v1, v0
	global_store_dword v[2:3], v1, off
.LBB23_256:
	s_mov_b64 s[6:7], 0
.LBB23_257:
	s_andn2_b64 vcc, exec, s[6:7]
	s_cbranch_vccnz .LBB23_266
; %bb.258:
	v_mov_b32_e32 v1, 6
	v_cmp_lt_i16_sdwa s[8:9], v23, v1 src0_sel:BYTE_0 src1_sel:DWORD
	s_mov_b64 s[6:7], -1
	s_and_b64 vcc, exec, s[8:9]
	s_cbranch_vccnz .LBB23_264
; %bb.259:
	v_cmp_gt_i16_sdwa s[8:9], v23, v1 src0_sel:BYTE_0 src1_sel:DWORD
	s_and_b64 vcc, exec, s[8:9]
	s_cbranch_vccz .LBB23_261
; %bb.260:
	v_cvt_f64_f32_e32 v[4:5], v0
	s_mov_b64 s[6:7], 0
	global_store_dwordx2 v[2:3], v[4:5], off
.LBB23_261:
	s_andn2_b64 vcc, exec, s[6:7]
	s_cbranch_vccnz .LBB23_263
; %bb.262:
	global_store_dword v[2:3], v0, off
.LBB23_263:
	s_mov_b64 s[6:7], 0
.LBB23_264:
	s_andn2_b64 vcc, exec, s[6:7]
	s_cbranch_vccnz .LBB23_266
; %bb.265:
	v_cvt_f16_f32_e32 v1, v0
	global_store_short v[2:3], v1, off
.LBB23_266:
	s_mov_b64 s[6:7], 0
.LBB23_267:
	s_andn2_b64 vcc, exec, s[6:7]
	s_cbranch_vccnz .LBB23_283
; %bb.268:
	v_mov_b32_e32 v1, 2
	v_cmp_lt_i16_sdwa s[8:9], v23, v1 src0_sel:BYTE_0 src1_sel:DWORD
	s_mov_b64 s[6:7], -1
	s_and_b64 vcc, exec, s[8:9]
	s_cbranch_vccnz .LBB23_278
; %bb.269:
	v_mov_b32_e32 v1, 3
	v_cmp_lt_i16_sdwa s[8:9], v23, v1 src0_sel:BYTE_0 src1_sel:DWORD
	s_and_b64 vcc, exec, s[8:9]
	s_cbranch_vccnz .LBB23_275
; %bb.270:
	v_cmp_gt_i16_sdwa s[8:9], v23, v1 src0_sel:BYTE_0 src1_sel:DWORD
	s_and_b64 vcc, exec, s[8:9]
	s_cbranch_vccz .LBB23_272
; %bb.271:
	v_trunc_f32_e32 v1, v0
	s_mov_b32 s6, 0x2f800000
	v_mul_f32_e64 v4, |v1|, s6
	v_floor_f32_e32 v4, v4
	s_mov_b32 s6, 0xcf800000
	v_cvt_u32_f32_e32 v5, v4
	v_fma_f32 v4, v4, s6, |v1|
	v_cvt_u32_f32_e32 v4, v4
	v_ashrrev_i32_e32 v1, 31, v1
	v_xor_b32_e32 v5, v5, v1
	s_mov_b64 s[6:7], 0
	v_xor_b32_e32 v4, v4, v1
	v_sub_co_u32_e32 v4, vcc, v4, v1
	v_subb_co_u32_e32 v5, vcc, v5, v1, vcc
	global_store_dwordx2 v[2:3], v[4:5], off
.LBB23_272:
	s_andn2_b64 vcc, exec, s[6:7]
	s_cbranch_vccnz .LBB23_274
; %bb.273:
	v_cvt_i32_f32_e32 v1, v0
	global_store_dword v[2:3], v1, off
.LBB23_274:
	s_mov_b64 s[6:7], 0
.LBB23_275:
	s_andn2_b64 vcc, exec, s[6:7]
	s_cbranch_vccnz .LBB23_277
; %bb.276:
	v_cvt_i32_f32_e32 v1, v0
	global_store_short v[2:3], v1, off
.LBB23_277:
	s_mov_b64 s[6:7], 0
.LBB23_278:
	s_andn2_b64 vcc, exec, s[6:7]
	s_cbranch_vccnz .LBB23_283
; %bb.279:
	v_mov_b32_e32 v1, 0
	v_cmp_gt_i16_sdwa s[8:9], v23, v1 src0_sel:BYTE_0 src1_sel:DWORD
	s_mov_b64 s[6:7], -1
	s_and_b64 vcc, exec, s[8:9]
	s_cbranch_vccz .LBB23_281
; %bb.280:
	v_cvt_i32_f32_e32 v1, v0
	s_mov_b64 s[6:7], 0
	global_store_byte v[2:3], v1, off
.LBB23_281:
	s_andn2_b64 vcc, exec, s[6:7]
	s_cbranch_vccnz .LBB23_283
; %bb.282:
	v_trunc_f32_e32 v0, v0
	s_mov_b32 s6, 0x2f800000
	v_mul_f32_e64 v1, |v0|, s6
	v_floor_f32_e32 v1, v1
	s_mov_b32 s6, 0xcf800000
	v_fma_f32 v1, v1, s6, |v0|
	v_cvt_u32_f32_e32 v1, v1
	v_ashrrev_i32_e32 v0, 31, v0
	v_xor_b32_e32 v1, v1, v0
	v_sub_u32_e32 v0, v1, v0
	global_store_byte v[2:3], v0, off
.LBB23_283:
	s_branch .LBB23_168
.LBB23_284:
	s_mov_b64 s[6:7], 0
                                        ; implicit-def: $vgpr26
.LBB23_285:
	s_andn2_b64 s[8:9], s[62:63], exec
	s_and_b64 s[4:5], s[4:5], exec
	s_or_b64 s[66:67], s[8:9], s[4:5]
	s_orn2_b64 s[8:9], s[6:7], exec
.LBB23_286:
	s_or_b64 exec, exec, s[68:69]
	s_mov_b64 s[4:5], 0
	s_mov_b64 s[6:7], 0
                                        ; implicit-def: $vgpr4
                                        ; implicit-def: $vgpr2_vgpr3
                                        ; implicit-def: $vgpr0
	s_and_saveexec_b64 s[68:69], s[8:9]
	s_cbranch_execz .LBB23_529
; %bb.287:
	v_cmp_gt_i32_e32 vcc, s74, v26
	s_mov_b64 s[6:7], -1
	s_mov_b64 s[72:73], s[66:67]
	s_and_saveexec_b64 s[70:71], vcc
	s_cbranch_execz .LBB23_432
; %bb.288:
	s_andn2_b64 vcc, exec, s[50:51]
	s_cbranch_vccnz .LBB23_294
; %bb.289:
	s_mov_b32 s24, 0
	s_andn2_b64 vcc, exec, s[60:61]
	v_mov_b32_e32 v2, 0
	v_mov_b32_e32 v24, 0
	s_cbranch_vccnz .LBB23_300
; %bb.290:
	s_add_i32 s72, s77, 1
	s_cmp_eq_u32 s76, 2
	s_cbranch_scc1 .LBB23_295
; %bb.291:
	s_and_b32 s24, s72, 28
	s_mov_b32 s25, 0
	v_mov_b32_e32 v24, 0
	s_mov_b64 s[26:27], s[34:35]
	s_mov_b64 s[30:31], s[58:59]
	v_mov_b32_e32 v0, v26
	v_mov_b32_e32 v2, 0
.LBB23_292:                             ; =>This Inner Loop Header: Depth=1
	s_load_dwordx8 s[12:19], s[26:27], 0x4
	s_load_dwordx4 s[20:23], s[26:27], 0x24
	s_load_dwordx8 s[4:11], s[30:31], 0x0
	s_add_u32 s26, s26, 48
	s_addc_u32 s27, s27, 0
	s_waitcnt lgkmcnt(0)
	v_mul_hi_u32 v1, s13, v0
	v_add_u32_e32 v1, v0, v1
	v_lshrrev_b32_e32 v1, s14, v1
	v_mul_lo_u32 v3, v1, s12
	v_mul_hi_u32 v4, s16, v1
	v_sub_u32_e32 v0, v0, v3
	v_add_u32_e32 v3, v1, v4
	v_lshrrev_b32_e32 v3, s17, v3
	v_mul_lo_u32 v5, v3, s15
	v_mul_hi_u32 v6, s19, v3
	v_sub_u32_e32 v1, v1, v5
	v_add_u32_e32 v5, v3, v6
	v_mul_lo_u32 v4, v0, s5
	v_mul_lo_u32 v0, v0, s4
	v_mul_lo_u32 v6, v1, s7
	v_mul_lo_u32 v1, v1, s6
	v_lshrrev_b32_e32 v5, s20, v5
	v_add3_u32 v1, v0, v24, v1
	v_add3_u32 v2, v4, v2, v6
	v_mul_lo_u32 v0, v5, s18
	v_mul_hi_u32 v4, s22, v5
	v_sub_u32_e32 v0, v3, v0
	v_add_u32_e32 v3, v5, v4
	v_mul_lo_u32 v4, v0, s8
	v_mul_lo_u32 v6, v0, s9
	v_lshrrev_b32_e32 v0, s23, v3
	s_add_i32 s25, s25, 4
	v_mul_lo_u32 v3, v0, s21
	s_add_u32 s30, s30, 32
	v_sub_u32_e32 v3, v5, v3
	s_addc_u32 s31, s31, 0
	v_mul_lo_u32 v5, v3, s10
	v_mul_lo_u32 v3, v3, s11
	s_cmp_eq_u32 s24, s25
	v_add3_u32 v2, v6, v2, v3
	v_add3_u32 v24, v4, v1, v5
	s_cbranch_scc0 .LBB23_292
; %bb.293:
	v_mov_b32_e32 v25, v2
	s_branch .LBB23_296
.LBB23_294:
	s_mov_b64 s[4:5], -1
                                        ; implicit-def: $vgpr2
                                        ; implicit-def: $vgpr24
	s_branch .LBB23_301
.LBB23_295:
	s_mov_b32 s25, s24
	v_pk_mov_b32 v[24:25], s[24:25], s[24:25] op_sel:[0,1]
                                        ; implicit-def: $vgpr2
	v_mov_b32_e32 v0, v26
.LBB23_296:
	s_and_b32 s8, s72, 3
	s_cmp_eq_u32 s8, 0
	s_cbranch_scc1 .LBB23_300
; %bb.297:
	s_lshl_b32 s4, s24, 3
	s_add_u32 s4, s4, s34
	s_addc_u32 s5, s35, 0
	s_add_u32 s4, s4, 0xc4
	s_addc_u32 s5, s5, 0
	s_mul_i32 s6, s24, 12
	s_add_u32 s6, s34, s6
	s_addc_u32 s7, s35, 0
.LBB23_298:                             ; =>This Inner Loop Header: Depth=1
	s_load_dwordx2 s[10:11], s[6:7], 0x4
	s_load_dword s9, s[6:7], 0xc
	s_load_dwordx2 s[12:13], s[4:5], 0x0
	s_add_u32 s6, s6, 12
	s_addc_u32 s7, s7, 0
	s_waitcnt lgkmcnt(0)
	v_mul_hi_u32 v1, s11, v0
	v_add_u32_e32 v1, v0, v1
	v_lshrrev_b32_e32 v1, s9, v1
	v_mul_lo_u32 v3, v1, s10
	v_mov_b32_e32 v2, v25
	s_add_u32 s4, s4, 8
	v_sub_u32_e32 v4, v0, v3
	s_addc_u32 s5, s5, 0
	s_add_i32 s8, s8, -1
	v_mad_u64_u32 v[2:3], s[10:11], v4, s13, v[2:3]
	v_mad_u64_u32 v[24:25], s[10:11], v4, s12, v[24:25]
	s_cmp_lg_u32 s8, 0
	v_mov_b32_e32 v0, v1
	v_mov_b32_e32 v25, v2
	s_cbranch_scc1 .LBB23_298
; %bb.299:
	v_mov_b32_e32 v2, v25
.LBB23_300:
	s_mov_b64 s[4:5], 0
.LBB23_301:
	s_andn2_b64 vcc, exec, s[4:5]
	s_cbranch_vccnz .LBB23_304
; %bb.302:
	s_waitcnt lgkmcnt(0)
	v_mul_hi_u32 v0, s45, v26
	v_add_u32_e32 v0, v26, v0
	v_lshrrev_b32_e32 v0, s46, v0
	v_mul_lo_u32 v1, v0, s44
	v_sub_u32_e32 v1, v26, v1
	v_mul_lo_u32 v2, v1, s41
	s_andn2_b64 vcc, exec, s[56:57]
	v_mul_lo_u32 v24, v1, s40
	s_cbranch_vccnz .LBB23_304
; %bb.303:
	v_mul_hi_u32 v1, s54, v0
	v_add_u32_e32 v1, v0, v1
	v_lshrrev_b32_e32 v1, s55, v1
	v_mul_lo_u32 v1, v1, s47
	v_sub_u32_e32 v0, v0, v1
	v_mad_u64_u32 v[24:25], s[4:5], v0, s42, v[24:25]
	v_mad_u64_u32 v[2:3], s[4:5], v0, s43, v[2:3]
.LBB23_304:
	s_waitcnt lgkmcnt(0)
	v_mov_b32_e32 v0, s38
	v_mov_b32_e32 v1, s39
	;; [unrolled: 1-line block ×3, first 2 shown]
	s_getpc_b64 s[4:5]
	s_add_u32 s4, s4, _ZN2at6native6invokeIZZZNS0_12_GLOBAL__N_119airy_ai_kernel_cudaERNS_18TensorIteratorBaseEENKUlvE_clEvENKUlvE0_clEvEUlfE_j15function_traitsIS7_EEENT1_11result_typeERKT_PrKPcPKT0_PKN3c1010ScalarTypeEi@rel32@lo+4
	s_addc_u32 s5, s5, _ZN2at6native6invokeIZZZNS0_12_GLOBAL__N_119airy_ai_kernel_cudaERNS_18TensorIteratorBaseEENKUlvE_clEvENKUlvE0_clEvEUlfE_j15function_traitsIS7_EEENT1_11result_typeERKT_PrKPcPKT0_PKN3c1010ScalarTypeEi@rel32@hi+12
	s_swappc_b64 s[30:31], s[4:5]
	v_mov_b32_e32 v1, s37
	v_add_co_u32_e32 v2, vcc, s36, v24
	v_addc_co_u32_e32 v3, vcc, 0, v1, vcc
	v_mov_b32_e32 v1, 11
	v_cmp_lt_i16_sdwa s[4:5], v23, v1 src0_sel:BYTE_0 src1_sel:DWORD
	s_and_b64 vcc, exec, s[4:5]
	s_cbranch_vccnz .LBB23_311
; %bb.305:
	v_mov_b32_e32 v1, 25
	v_cmp_gt_i16_sdwa s[4:5], v23, v1 src0_sel:BYTE_0 src1_sel:DWORD
	s_and_b64 vcc, exec, s[4:5]
	s_cbranch_vccz .LBB23_312
; %bb.306:
	v_mov_b32_e32 v1, 28
	v_cmp_gt_i16_sdwa s[4:5], v23, v1 src0_sel:BYTE_0 src1_sel:DWORD
	s_and_b64 vcc, exec, s[4:5]
	s_cbranch_vccz .LBB23_313
; %bb.307:
	v_mov_b32_e32 v1, 43
	v_cmp_gt_i16_sdwa s[4:5], v23, v1 src0_sel:BYTE_0 src1_sel:DWORD
	s_and_b64 vcc, exec, s[4:5]
	s_cbranch_vccz .LBB23_316
; %bb.308:
	v_mov_b32_e32 v1, 45
	v_cmp_gt_i16_sdwa s[4:5], v23, v1 src0_sel:BYTE_0 src1_sel:DWORD
	s_and_b64 vcc, exec, s[4:5]
	s_cbranch_vccz .LBB23_319
; %bb.309:
	v_mov_b32_e32 v1, 46
	v_cmp_eq_u16_sdwa s[6:7], v23, v1 src0_sel:BYTE_0 src1_sel:DWORD
	s_mov_b64 s[8:9], 0
	s_mov_b64 s[4:5], -1
	s_and_b64 vcc, exec, s[6:7]
	s_mov_b64 s[6:7], 0
	s_cbranch_vccz .LBB23_320
; %bb.310:
	v_bfe_u32 v1, v0, 16, 1
	s_movk_i32 s4, 0x7fff
	v_add3_u32 v1, v0, v1, s4
	v_lshrrev_b32_e32 v1, 16, v1
	v_mov_b32_e32 v4, 0x7fc0
	v_cmp_o_f32_e32 vcc, v0, v0
	v_cndmask_b32_e32 v1, v4, v1, vcc
	global_store_dword v[2:3], v1, off
	s_mov_b64 s[6:7], -1
	s_mov_b64 s[4:5], 0
	s_branch .LBB23_320
.LBB23_311:
	s_mov_b64 s[8:9], -1
	s_mov_b64 s[6:7], 0
	s_mov_b64 s[4:5], s[66:67]
	s_branch .LBB23_389
.LBB23_312:
	s_mov_b64 s[8:9], -1
	s_mov_b64 s[6:7], 0
	s_mov_b64 s[4:5], s[66:67]
	s_branch .LBB23_347
.LBB23_313:
	s_mov_b64 s[8:9], -1
	s_mov_b64 s[6:7], 0
	s_mov_b64 s[4:5], s[66:67]
	s_branch .LBB23_330
.LBB23_314:
	s_or_saveexec_b64 s[10:11], s[10:11]
                                        ; implicit-def: $sgpr12
	s_xor_b64 exec, exec, s[10:11]
	s_cbranch_execz .LBB23_198
.LBB23_315:
	s_mov_b32 s12, 0x46000000
	v_add_f32_e64 v1, |v0|, s12
	v_and_b32_e32 v1, 0xff, v1
	v_cmp_ne_u32_e32 vcc, 0, v1
	s_andn2_b64 s[8:9], s[8:9], exec
	s_and_b64 s[14:15], vcc, exec
	s_mov_b32 s12, 0
	s_or_b64 s[8:9], s[8:9], s[14:15]
	s_or_b64 exec, exec, s[10:11]
	v_mov_b32_e32 v4, s12
	s_and_saveexec_b64 s[10:11], s[8:9]
	s_cbranch_execnz .LBB23_199
	s_branch .LBB23_200
.LBB23_316:
	s_mov_b64 s[8:9], -1
	s_mov_b64 s[6:7], 0
	s_mov_b64 s[4:5], s[66:67]
	s_branch .LBB23_326
.LBB23_317:
	s_or_saveexec_b64 s[10:11], s[10:11]
                                        ; implicit-def: $sgpr12
	s_xor_b64 exec, exec, s[10:11]
	s_cbranch_execz .LBB23_211
.LBB23_318:
	s_mov_b32 s12, 0x42800000
	v_add_f32_e64 v1, |v0|, s12
	v_and_b32_e32 v1, 0xff, v1
	v_cmp_ne_u32_e32 vcc, 0, v1
	s_andn2_b64 s[8:9], s[8:9], exec
	s_and_b64 s[14:15], vcc, exec
	s_mov_b32 s12, 0
	s_or_b64 s[8:9], s[8:9], s[14:15]
	s_or_b64 exec, exec, s[10:11]
	v_mov_b32_e32 v4, s12
	s_and_saveexec_b64 s[10:11], s[8:9]
	s_cbranch_execnz .LBB23_212
	s_branch .LBB23_213
.LBB23_319:
	s_mov_b64 s[8:9], -1
	s_mov_b64 s[6:7], 0
	s_mov_b64 s[4:5], s[66:67]
.LBB23_320:
	s_and_b64 vcc, exec, s[8:9]
	s_cbranch_vccz .LBB23_325
; %bb.321:
	v_mov_b32_e32 v1, 44
	v_cmp_eq_u16_sdwa s[8:9], v23, v1 src0_sel:BYTE_0 src1_sel:DWORD
	s_mov_b64 s[4:5], -1
	s_and_b64 vcc, exec, s[8:9]
	s_cbranch_vccz .LBB23_325
; %bb.322:
	v_bfe_u32 v1, v0, 23, 8
	s_movk_i32 s4, 0xff
	v_cmp_ne_u32_e32 vcc, s4, v1
	v_mov_b32_e32 v4, 0xff
	s_and_saveexec_b64 s[6:7], vcc
; %bb.323:
	s_mov_b32 s4, 0x3fffff
	v_and_b32_e32 v5, 0x400000, v0
	v_and_or_b32 v1, v0, s4, v1
	v_cmp_ne_u32_e32 vcc, 0, v5
	v_cmp_ne_u32_e64 s[4:5], 0, v1
	s_and_b64 s[4:5], vcc, s[4:5]
	v_lshrrev_b32_e32 v4, 23, v0
	v_cndmask_b32_e64 v1, 0, 1, s[4:5]
	v_add_u32_e32 v4, v4, v1
; %bb.324:
	s_or_b64 exec, exec, s[6:7]
	s_mov_b64 s[6:7], -1
	s_mov_b64 s[4:5], 0
	global_store_byte v[2:3], v4, off
.LBB23_325:
	s_mov_b64 s[8:9], 0
.LBB23_326:
	s_and_b64 vcc, exec, s[8:9]
	s_cbranch_vccz .LBB23_329
; %bb.327:
	v_mov_b32_e32 v1, 29
	v_cmp_eq_u16_sdwa s[8:9], v23, v1 src0_sel:BYTE_0 src1_sel:DWORD
	s_mov_b64 s[4:5], -1
	s_and_b64 vcc, exec, s[8:9]
	s_cbranch_vccz .LBB23_329
; %bb.328:
	v_trunc_f32_e32 v1, v0
	v_mul_f32_e32 v4, 0x2f800000, v1
	v_floor_f32_e32 v4, v4
	v_fmac_f32_e32 v1, 0xcf800000, v4
	v_cvt_u32_f32_e32 v5, v4
	v_cvt_u32_f32_e32 v4, v1
	s_mov_b64 s[6:7], -1
	s_mov_b64 s[4:5], 0
	s_mov_b64 s[8:9], 0
	global_store_dwordx2 v[2:3], v[4:5], off
	s_branch .LBB23_330
.LBB23_329:
	s_mov_b64 s[8:9], 0
.LBB23_330:
	s_and_b64 vcc, exec, s[8:9]
	s_cbranch_vccz .LBB23_346
; %bb.331:
	v_mov_b32_e32 v1, 27
	v_cmp_lt_i16_sdwa s[8:9], v23, v1 src0_sel:BYTE_0 src1_sel:DWORD
	s_mov_b64 s[6:7], -1
	s_and_b64 vcc, exec, s[8:9]
	s_cbranch_vccnz .LBB23_337
; %bb.332:
	v_cmp_gt_i16_sdwa s[8:9], v23, v1 src0_sel:BYTE_0 src1_sel:DWORD
	v_cvt_u32_f32_e32 v1, v0
	s_and_b64 vcc, exec, s[8:9]
	s_cbranch_vccz .LBB23_334
; %bb.333:
	s_mov_b64 s[6:7], 0
	global_store_dword v[2:3], v1, off
.LBB23_334:
	s_andn2_b64 vcc, exec, s[6:7]
	s_cbranch_vccnz .LBB23_336
; %bb.335:
	global_store_short v[2:3], v1, off
.LBB23_336:
	s_mov_b64 s[6:7], 0
.LBB23_337:
	s_andn2_b64 vcc, exec, s[6:7]
	s_cbranch_vccnz .LBB23_345
; %bb.338:
	v_and_b32_e32 v1, 0x7fffffff, v0
	s_mov_b32 s6, 0x43800000
	v_cmp_gt_u32_e32 vcc, s6, v1
	v_mov_b32_e32 v4, 0x80
	s_and_saveexec_b64 s[6:7], vcc
	s_cbranch_execz .LBB23_344
; %bb.339:
	s_mov_b32 s8, 0x3bffffff
	v_cmp_lt_u32_e32 vcc, s8, v1
	s_mov_b64 s[8:9], 0
                                        ; implicit-def: $vgpr1
	s_and_saveexec_b64 s[10:11], vcc
	s_xor_b64 s[10:11], exec, s[10:11]
	s_cbranch_execz .LBB23_1124
; %bb.340:
	v_bfe_u32 v1, v0, 20, 1
	s_mov_b32 s12, 0x487ffff
	v_add3_u32 v1, v0, v1, s12
	s_mov_b64 s[8:9], exec
	v_lshrrev_b32_e32 v1, 20, v1
	s_or_saveexec_b64 s[10:11], s[10:11]
                                        ; implicit-def: $sgpr12
	s_xor_b64 exec, exec, s[10:11]
	s_cbranch_execnz .LBB23_1125
.LBB23_341:
	s_or_b64 exec, exec, s[10:11]
	v_mov_b32_e32 v4, s12
	s_and_saveexec_b64 s[10:11], s[8:9]
.LBB23_342:
	v_lshrrev_b32_e32 v4, 24, v0
	s_movk_i32 s8, 0x80
	v_and_or_b32 v4, v4, s8, v1
.LBB23_343:
	s_or_b64 exec, exec, s[10:11]
.LBB23_344:
	s_or_b64 exec, exec, s[6:7]
	global_store_byte v[2:3], v4, off
.LBB23_345:
	s_mov_b64 s[6:7], -1
.LBB23_346:
	s_mov_b64 s[8:9], 0
.LBB23_347:
	s_and_b64 vcc, exec, s[8:9]
	s_cbranch_vccz .LBB23_388
; %bb.348:
	v_mov_b32_e32 v1, 22
	v_cmp_gt_i16_sdwa s[10:11], v23, v1 src0_sel:BYTE_0 src1_sel:DWORD
	s_mov_b64 s[8:9], -1
	s_and_b64 vcc, exec, s[10:11]
	s_cbranch_vccz .LBB23_380
; %bb.349:
	v_mov_b32_e32 v1, 24
	v_cmp_lt_i16_sdwa s[8:9], v23, v1 src0_sel:BYTE_0 src1_sel:DWORD
	s_mov_b64 s[6:7], -1
	s_and_b64 vcc, exec, s[8:9]
	s_cbranch_vccnz .LBB23_369
; %bb.350:
	v_cmp_gt_i16_sdwa s[8:9], v23, v1 src0_sel:BYTE_0 src1_sel:DWORD
	s_and_b64 vcc, exec, s[8:9]
	s_cbranch_vccz .LBB23_358
; %bb.351:
	v_and_b32_e32 v1, 0x7fffffff, v0
	s_mov_b32 s6, 0x47800000
	v_cmp_gt_u32_e32 vcc, s6, v1
	v_mov_b32_e32 v4, 0x80
	s_and_saveexec_b64 s[6:7], vcc
	s_cbranch_execz .LBB23_357
; %bb.352:
	s_mov_b32 s8, 0x37ffffff
	v_cmp_lt_u32_e32 vcc, s8, v1
	s_mov_b64 s[8:9], 0
                                        ; implicit-def: $vgpr1
	s_and_saveexec_b64 s[10:11], vcc
	s_xor_b64 s[10:11], exec, s[10:11]
	s_cbranch_execz .LBB23_1131
; %bb.353:
	v_bfe_u32 v1, v0, 21, 1
	s_mov_b32 s12, 0x88fffff
	v_add3_u32 v1, v0, v1, s12
	s_mov_b64 s[8:9], exec
	v_lshrrev_b32_e32 v1, 21, v1
	s_or_saveexec_b64 s[10:11], s[10:11]
                                        ; implicit-def: $sgpr12
	s_xor_b64 exec, exec, s[10:11]
	s_cbranch_execnz .LBB23_1132
.LBB23_354:
	s_or_b64 exec, exec, s[10:11]
	v_mov_b32_e32 v4, s12
	s_and_saveexec_b64 s[10:11], s[8:9]
.LBB23_355:
	v_lshrrev_b32_e32 v4, 24, v0
	s_movk_i32 s8, 0x80
	v_and_or_b32 v4, v4, s8, v1
.LBB23_356:
	s_or_b64 exec, exec, s[10:11]
.LBB23_357:
	s_or_b64 exec, exec, s[6:7]
	s_mov_b64 s[6:7], 0
	global_store_byte v[2:3], v4, off
.LBB23_358:
	s_and_b64 vcc, exec, s[6:7]
	s_cbranch_vccz .LBB23_368
; %bb.359:
	v_and_b32_e32 v4, 0x7fffffff, v0
	s_mov_b32 s6, 0x43f00000
	v_cmp_gt_u32_e32 vcc, s6, v4
                                        ; implicit-def: $vgpr1
	s_and_saveexec_b64 s[6:7], vcc
	s_xor_b64 s[6:7], exec, s[6:7]
	s_cbranch_execz .LBB23_365
; %bb.360:
	s_mov_b32 s8, 0x3c7fffff
	v_cmp_lt_u32_e32 vcc, s8, v4
                                        ; implicit-def: $vgpr1
	s_and_saveexec_b64 s[8:9], vcc
	s_xor_b64 s[8:9], exec, s[8:9]
; %bb.361:
	v_bfe_u32 v1, v0, 20, 1
	s_mov_b32 s10, 0x407ffff
	v_add3_u32 v1, v0, v1, s10
	v_lshrrev_b32_e32 v4, 20, v1
	v_and_b32_e32 v1, 0xff00000, v1
	s_mov_b32 s10, 0x7f00000
	v_mov_b32_e32 v5, 0x7e
	v_cmp_ne_u32_e32 vcc, s10, v1
	v_cndmask_b32_e32 v1, v5, v4, vcc
; %bb.362:
	s_andn2_saveexec_b64 s[8:9], s[8:9]
; %bb.363:
	s_mov_b32 s10, 0x46800000
	v_add_f32_e64 v1, |v0|, s10
; %bb.364:
	s_or_b64 exec, exec, s[8:9]
                                        ; implicit-def: $vgpr4
.LBB23_365:
	s_andn2_saveexec_b64 s[6:7], s[6:7]
; %bb.366:
	s_mov_b32 s8, 0x7f800000
	v_mov_b32_e32 v1, 0x7e
	v_mov_b32_e32 v5, 0x7f
	v_cmp_lt_u32_e32 vcc, s8, v4
	v_cndmask_b32_e32 v1, v1, v5, vcc
; %bb.367:
	s_or_b64 exec, exec, s[6:7]
	v_lshrrev_b32_e32 v4, 24, v0
	s_movk_i32 s6, 0x80
	v_and_or_b32 v1, v4, s6, v1
	global_store_byte v[2:3], v1, off
.LBB23_368:
	s_mov_b64 s[6:7], 0
.LBB23_369:
	s_andn2_b64 vcc, exec, s[6:7]
	s_cbranch_vccnz .LBB23_379
; %bb.370:
	v_and_b32_e32 v4, 0x7fffffff, v0
	s_mov_b32 s6, 0x47800000
	v_cmp_gt_u32_e32 vcc, s6, v4
                                        ; implicit-def: $vgpr1
	s_and_saveexec_b64 s[6:7], vcc
	s_xor_b64 s[6:7], exec, s[6:7]
	s_cbranch_execz .LBB23_376
; %bb.371:
	s_mov_b32 s8, 0x387fffff
	v_cmp_lt_u32_e32 vcc, s8, v4
                                        ; implicit-def: $vgpr1
	s_and_saveexec_b64 s[8:9], vcc
	s_xor_b64 s[8:9], exec, s[8:9]
; %bb.372:
	v_bfe_u32 v1, v0, 21, 1
	s_mov_b32 s10, 0x80fffff
	v_add3_u32 v1, v0, v1, s10
	v_lshrrev_b32_e32 v1, 21, v1
; %bb.373:
	s_andn2_saveexec_b64 s[8:9], s[8:9]
; %bb.374:
	s_mov_b32 s10, 0x43000000
	v_add_f32_e64 v1, |v0|, s10
; %bb.375:
	s_or_b64 exec, exec, s[8:9]
                                        ; implicit-def: $vgpr4
.LBB23_376:
	s_andn2_saveexec_b64 s[6:7], s[6:7]
; %bb.377:
	s_mov_b32 s8, 0x7f800000
	v_mov_b32_e32 v1, 0x7c
	v_mov_b32_e32 v5, 0x7f
	v_cmp_lt_u32_e32 vcc, s8, v4
	v_cndmask_b32_e32 v1, v1, v5, vcc
; %bb.378:
	s_or_b64 exec, exec, s[6:7]
	v_lshrrev_b32_e32 v4, 24, v0
	s_movk_i32 s6, 0x80
	v_and_or_b32 v1, v4, s6, v1
	global_store_byte v[2:3], v1, off
.LBB23_379:
	s_mov_b64 s[8:9], 0
	s_mov_b64 s[6:7], -1
.LBB23_380:
	s_andn2_b64 vcc, exec, s[8:9]
	s_cbranch_vccnz .LBB23_388
; %bb.381:
	v_mov_b32_e32 v1, 14
	v_cmp_gt_i16_sdwa s[10:11], v23, v1 src0_sel:BYTE_0 src1_sel:DWORD
	s_mov_b64 s[8:9], -1
	s_and_b64 vcc, exec, s[10:11]
	s_cbranch_vccz .LBB23_385
; %bb.382:
	v_mov_b32_e32 v1, 15
	v_cmp_eq_u16_sdwa s[8:9], v23, v1 src0_sel:BYTE_0 src1_sel:DWORD
	s_mov_b64 s[4:5], -1
	s_and_b64 vcc, exec, s[8:9]
	s_cbranch_vccz .LBB23_384
; %bb.383:
	v_bfe_u32 v1, v0, 16, 1
	s_movk_i32 s4, 0x7fff
	v_add3_u32 v1, v0, v1, s4
	v_lshrrev_b32_e32 v1, 16, v1
	v_mov_b32_e32 v4, 0x7fc0
	v_cmp_o_f32_e32 vcc, v0, v0
	v_cndmask_b32_e32 v1, v4, v1, vcc
	global_store_short v[2:3], v1, off
	s_mov_b64 s[6:7], -1
	s_mov_b64 s[4:5], 0
.LBB23_384:
	s_mov_b64 s[8:9], 0
.LBB23_385:
	s_and_b64 vcc, exec, s[8:9]
	s_cbranch_vccz .LBB23_388
; %bb.386:
	v_mov_b32_e32 v1, 11
	v_cmp_eq_u16_sdwa s[8:9], v23, v1 src0_sel:BYTE_0 src1_sel:DWORD
	s_mov_b64 s[4:5], -1
	s_and_b64 vcc, exec, s[8:9]
	s_cbranch_vccz .LBB23_388
; %bb.387:
	v_cmp_neq_f32_e32 vcc, 0, v0
	v_cndmask_b32_e64 v1, 0, 1, vcc
	s_mov_b64 s[6:7], -1
	s_mov_b64 s[4:5], 0
	global_store_byte v[2:3], v1, off
.LBB23_388:
	s_mov_b64 s[8:9], 0
.LBB23_389:
	s_and_b64 vcc, exec, s[8:9]
	s_cbranch_vccz .LBB23_428
; %bb.390:
	v_mov_b32_e32 v1, 5
	v_cmp_lt_i16_sdwa s[8:9], v23, v1 src0_sel:BYTE_0 src1_sel:DWORD
	s_mov_b64 s[6:7], -1
	s_and_b64 vcc, exec, s[8:9]
	s_cbranch_vccnz .LBB23_411
; %bb.391:
	v_mov_b32_e32 v1, 8
	v_cmp_lt_i16_sdwa s[8:9], v23, v1 src0_sel:BYTE_0 src1_sel:DWORD
	s_and_b64 vcc, exec, s[8:9]
	s_cbranch_vccnz .LBB23_401
; %bb.392:
	v_mov_b32_e32 v1, 9
	v_cmp_lt_i16_sdwa s[8:9], v23, v1 src0_sel:BYTE_0 src1_sel:DWORD
	s_and_b64 vcc, exec, s[8:9]
	s_cbranch_vccnz .LBB23_398
; %bb.393:
	v_cmp_gt_i16_sdwa s[8:9], v23, v1 src0_sel:BYTE_0 src1_sel:DWORD
	s_and_b64 vcc, exec, s[8:9]
	s_cbranch_vccz .LBB23_395
; %bb.394:
	v_mov_b32_e32 v6, 0
	v_cvt_f64_f32_e32 v[4:5], v0
	v_mov_b32_e32 v7, v6
	s_mov_b64 s[6:7], 0
	global_store_dwordx4 v[2:3], v[4:7], off
.LBB23_395:
	s_andn2_b64 vcc, exec, s[6:7]
	s_cbranch_vccnz .LBB23_397
; %bb.396:
	v_mov_b32_e32 v1, 0
	global_store_dwordx2 v[2:3], v[0:1], off
.LBB23_397:
	s_mov_b64 s[6:7], 0
.LBB23_398:
	s_andn2_b64 vcc, exec, s[6:7]
	s_cbranch_vccnz .LBB23_400
; %bb.399:
	v_cvt_f16_f32_e32 v1, v0
	global_store_dword v[2:3], v1, off
.LBB23_400:
	s_mov_b64 s[6:7], 0
.LBB23_401:
	s_andn2_b64 vcc, exec, s[6:7]
	s_cbranch_vccnz .LBB23_410
; %bb.402:
	v_mov_b32_e32 v1, 6
	v_cmp_lt_i16_sdwa s[8:9], v23, v1 src0_sel:BYTE_0 src1_sel:DWORD
	s_mov_b64 s[6:7], -1
	s_and_b64 vcc, exec, s[8:9]
	s_cbranch_vccnz .LBB23_408
; %bb.403:
	v_cmp_gt_i16_sdwa s[8:9], v23, v1 src0_sel:BYTE_0 src1_sel:DWORD
	s_and_b64 vcc, exec, s[8:9]
	s_cbranch_vccz .LBB23_405
; %bb.404:
	v_cvt_f64_f32_e32 v[4:5], v0
	s_mov_b64 s[6:7], 0
	global_store_dwordx2 v[2:3], v[4:5], off
.LBB23_405:
	s_andn2_b64 vcc, exec, s[6:7]
	s_cbranch_vccnz .LBB23_407
; %bb.406:
	global_store_dword v[2:3], v0, off
.LBB23_407:
	s_mov_b64 s[6:7], 0
.LBB23_408:
	s_andn2_b64 vcc, exec, s[6:7]
	s_cbranch_vccnz .LBB23_410
; %bb.409:
	v_cvt_f16_f32_e32 v1, v0
	global_store_short v[2:3], v1, off
.LBB23_410:
	s_mov_b64 s[6:7], 0
.LBB23_411:
	s_andn2_b64 vcc, exec, s[6:7]
	s_cbranch_vccnz .LBB23_427
; %bb.412:
	v_mov_b32_e32 v1, 2
	v_cmp_lt_i16_sdwa s[8:9], v23, v1 src0_sel:BYTE_0 src1_sel:DWORD
	s_mov_b64 s[6:7], -1
	s_and_b64 vcc, exec, s[8:9]
	s_cbranch_vccnz .LBB23_422
; %bb.413:
	v_mov_b32_e32 v1, 3
	v_cmp_lt_i16_sdwa s[8:9], v23, v1 src0_sel:BYTE_0 src1_sel:DWORD
	s_and_b64 vcc, exec, s[8:9]
	s_cbranch_vccnz .LBB23_419
; %bb.414:
	v_cmp_gt_i16_sdwa s[8:9], v23, v1 src0_sel:BYTE_0 src1_sel:DWORD
	s_and_b64 vcc, exec, s[8:9]
	s_cbranch_vccz .LBB23_416
; %bb.415:
	v_trunc_f32_e32 v1, v0
	s_mov_b32 s6, 0x2f800000
	v_mul_f32_e64 v4, |v1|, s6
	v_floor_f32_e32 v4, v4
	s_mov_b32 s6, 0xcf800000
	v_cvt_u32_f32_e32 v5, v4
	v_fma_f32 v4, v4, s6, |v1|
	v_cvt_u32_f32_e32 v4, v4
	v_ashrrev_i32_e32 v1, 31, v1
	v_xor_b32_e32 v5, v5, v1
	s_mov_b64 s[6:7], 0
	v_xor_b32_e32 v4, v4, v1
	v_sub_co_u32_e32 v4, vcc, v4, v1
	v_subb_co_u32_e32 v5, vcc, v5, v1, vcc
	global_store_dwordx2 v[2:3], v[4:5], off
.LBB23_416:
	s_andn2_b64 vcc, exec, s[6:7]
	s_cbranch_vccnz .LBB23_418
; %bb.417:
	v_cvt_i32_f32_e32 v1, v0
	global_store_dword v[2:3], v1, off
.LBB23_418:
	s_mov_b64 s[6:7], 0
.LBB23_419:
	s_andn2_b64 vcc, exec, s[6:7]
	s_cbranch_vccnz .LBB23_421
; %bb.420:
	v_cvt_i32_f32_e32 v1, v0
	global_store_short v[2:3], v1, off
.LBB23_421:
	s_mov_b64 s[6:7], 0
.LBB23_422:
	s_andn2_b64 vcc, exec, s[6:7]
	s_cbranch_vccnz .LBB23_427
; %bb.423:
	v_mov_b32_e32 v1, 0
	v_cmp_gt_i16_sdwa s[8:9], v23, v1 src0_sel:BYTE_0 src1_sel:DWORD
	s_mov_b64 s[6:7], -1
	s_and_b64 vcc, exec, s[8:9]
	s_cbranch_vccz .LBB23_425
; %bb.424:
	v_cvt_i32_f32_e32 v1, v0
	s_mov_b64 s[6:7], 0
	global_store_byte v[2:3], v1, off
.LBB23_425:
	s_andn2_b64 vcc, exec, s[6:7]
	s_cbranch_vccnz .LBB23_427
; %bb.426:
	v_trunc_f32_e32 v0, v0
	s_mov_b32 s6, 0x2f800000
	v_mul_f32_e64 v1, |v0|, s6
	v_floor_f32_e32 v1, v1
	s_mov_b32 s6, 0xcf800000
	v_fma_f32 v1, v1, s6, |v0|
	v_cvt_u32_f32_e32 v1, v1
	v_ashrrev_i32_e32 v0, 31, v0
	v_xor_b32_e32 v1, v1, v0
	v_sub_u32_e32 v0, v1, v0
	global_store_byte v[2:3], v0, off
.LBB23_427:
	s_mov_b64 s[6:7], -1
.LBB23_428:
	s_andn2_b64 vcc, exec, s[6:7]
	s_cbranch_vccnz .LBB23_430
; %bb.429:
	v_add_u32_e32 v26, 0x80, v26
	s_mov_b64 s[6:7], -1
	s_branch .LBB23_431
.LBB23_430:
	s_mov_b64 s[6:7], 0
                                        ; implicit-def: $vgpr26
.LBB23_431:
	s_andn2_b64 s[8:9], s[66:67], exec
	s_and_b64 s[4:5], s[4:5], exec
	s_or_b64 s[72:73], s[8:9], s[4:5]
	s_orn2_b64 s[6:7], s[6:7], exec
.LBB23_432:
	s_or_b64 exec, exec, s[70:71]
	s_mov_b64 s[4:5], 0
	s_mov_b64 s[10:11], 0
                                        ; implicit-def: $vgpr4
                                        ; implicit-def: $vgpr2_vgpr3
                                        ; implicit-def: $vgpr0
	s_and_saveexec_b64 s[70:71], s[6:7]
	s_cbranch_execz .LBB23_528
; %bb.433:
	v_cmp_gt_i32_e32 vcc, s74, v26
	s_mov_b64 s[6:7], 0
	s_mov_b64 s[8:9], s[72:73]
                                        ; implicit-def: $vgpr4
                                        ; implicit-def: $vgpr2_vgpr3
                                        ; implicit-def: $vgpr0
	s_and_saveexec_b64 s[74:75], vcc
	s_cbranch_execz .LBB23_527
; %bb.434:
	s_andn2_b64 vcc, exec, s[50:51]
	s_cbranch_vccnz .LBB23_440
; %bb.435:
	s_mov_b32 s24, 0
	s_andn2_b64 vcc, exec, s[60:61]
	v_mov_b32_e32 v2, 0
	v_mov_b32_e32 v24, 0
	s_cbranch_vccnz .LBB23_446
; %bb.436:
	s_add_i32 s77, s77, 1
	s_cmp_eq_u32 s76, 2
	s_cbranch_scc1 .LBB23_441
; %bb.437:
	s_and_b32 s24, s77, 28
	s_mov_b32 s25, 0
	v_mov_b32_e32 v24, 0
	s_mov_b64 s[26:27], s[34:35]
	v_mov_b32_e32 v0, v26
	v_mov_b32_e32 v2, 0
.LBB23_438:                             ; =>This Inner Loop Header: Depth=1
	s_load_dwordx8 s[12:19], s[26:27], 0x4
	s_load_dwordx4 s[20:23], s[26:27], 0x24
	s_load_dwordx8 s[4:11], s[58:59], 0x0
	s_add_u32 s26, s26, 48
	s_addc_u32 s27, s27, 0
	s_waitcnt lgkmcnt(0)
	v_mul_hi_u32 v1, s13, v0
	v_add_u32_e32 v1, v0, v1
	v_lshrrev_b32_e32 v1, s14, v1
	v_mul_lo_u32 v3, v1, s12
	v_mul_hi_u32 v4, s16, v1
	v_sub_u32_e32 v0, v0, v3
	v_add_u32_e32 v3, v1, v4
	v_lshrrev_b32_e32 v3, s17, v3
	v_mul_lo_u32 v5, v3, s15
	v_mul_hi_u32 v6, s19, v3
	v_sub_u32_e32 v1, v1, v5
	v_add_u32_e32 v5, v3, v6
	v_mul_lo_u32 v4, v0, s5
	v_mul_lo_u32 v0, v0, s4
	;; [unrolled: 1-line block ×4, first 2 shown]
	v_lshrrev_b32_e32 v5, s20, v5
	v_add3_u32 v1, v0, v24, v1
	v_add3_u32 v2, v4, v2, v6
	v_mul_lo_u32 v0, v5, s18
	v_mul_hi_u32 v4, s22, v5
	v_sub_u32_e32 v0, v3, v0
	v_add_u32_e32 v3, v5, v4
	v_mul_lo_u32 v4, v0, s8
	v_mul_lo_u32 v6, v0, s9
	v_lshrrev_b32_e32 v0, s23, v3
	s_add_i32 s25, s25, 4
	v_mul_lo_u32 v3, v0, s21
	s_add_u32 s58, s58, 32
	v_sub_u32_e32 v3, v5, v3
	s_addc_u32 s59, s59, 0
	v_mul_lo_u32 v5, v3, s10
	v_mul_lo_u32 v3, v3, s11
	s_cmp_eq_u32 s24, s25
	v_add3_u32 v2, v6, v2, v3
	v_add3_u32 v24, v4, v1, v5
	s_cbranch_scc0 .LBB23_438
; %bb.439:
	v_mov_b32_e32 v25, v2
	s_branch .LBB23_442
.LBB23_440:
	s_mov_b64 s[4:5], -1
                                        ; implicit-def: $vgpr2
                                        ; implicit-def: $vgpr24
	s_branch .LBB23_447
.LBB23_441:
	s_mov_b32 s25, s24
	v_pk_mov_b32 v[24:25], s[24:25], s[24:25] op_sel:[0,1]
                                        ; implicit-def: $vgpr2
	v_mov_b32_e32 v0, v26
.LBB23_442:
	s_and_b32 s8, s77, 3
	s_cmp_eq_u32 s8, 0
	s_cbranch_scc1 .LBB23_446
; %bb.443:
	s_lshl_b32 s4, s24, 3
	s_add_u32 s4, s4, s34
	s_addc_u32 s5, s35, 0
	s_add_u32 s4, s4, 0xc4
	s_addc_u32 s5, s5, 0
	s_mul_i32 s6, s24, 12
	s_add_u32 s6, s34, s6
	s_addc_u32 s7, s35, 0
.LBB23_444:                             ; =>This Inner Loop Header: Depth=1
	s_load_dwordx2 s[10:11], s[6:7], 0x4
	s_load_dword s9, s[6:7], 0xc
	s_load_dwordx2 s[12:13], s[4:5], 0x0
	s_add_u32 s6, s6, 12
	s_addc_u32 s7, s7, 0
	s_waitcnt lgkmcnt(0)
	v_mul_hi_u32 v1, s11, v0
	v_add_u32_e32 v1, v0, v1
	v_lshrrev_b32_e32 v1, s9, v1
	v_mul_lo_u32 v3, v1, s10
	v_mov_b32_e32 v2, v25
	s_add_u32 s4, s4, 8
	v_sub_u32_e32 v4, v0, v3
	s_addc_u32 s5, s5, 0
	s_add_i32 s8, s8, -1
	v_mad_u64_u32 v[2:3], s[10:11], v4, s13, v[2:3]
	v_mad_u64_u32 v[24:25], s[10:11], v4, s12, v[24:25]
	s_cmp_lg_u32 s8, 0
	v_mov_b32_e32 v0, v1
	v_mov_b32_e32 v25, v2
	s_cbranch_scc1 .LBB23_444
; %bb.445:
	v_mov_b32_e32 v2, v25
.LBB23_446:
	s_mov_b64 s[4:5], 0
.LBB23_447:
	s_andn2_b64 vcc, exec, s[4:5]
	s_cbranch_vccnz .LBB23_450
; %bb.448:
	s_waitcnt lgkmcnt(0)
	v_mul_hi_u32 v0, s45, v26
	v_add_u32_e32 v0, v26, v0
	v_lshrrev_b32_e32 v0, s46, v0
	v_mul_lo_u32 v1, v0, s44
	v_sub_u32_e32 v1, v26, v1
	v_mul_lo_u32 v2, v1, s41
	s_andn2_b64 vcc, exec, s[56:57]
	v_mul_lo_u32 v24, v1, s40
	s_cbranch_vccnz .LBB23_450
; %bb.449:
	v_mul_hi_u32 v1, s54, v0
	v_add_u32_e32 v1, v0, v1
	v_lshrrev_b32_e32 v1, s55, v1
	v_mul_lo_u32 v1, v1, s47
	v_sub_u32_e32 v0, v0, v1
	v_mad_u64_u32 v[24:25], s[4:5], v0, s42, v[24:25]
	v_mad_u64_u32 v[2:3], s[4:5], v0, s43, v[2:3]
.LBB23_450:
	s_waitcnt lgkmcnt(0)
	v_mov_b32_e32 v0, s38
	v_mov_b32_e32 v1, s39
	;; [unrolled: 1-line block ×3, first 2 shown]
	s_getpc_b64 s[4:5]
	s_add_u32 s4, s4, _ZN2at6native6invokeIZZZNS0_12_GLOBAL__N_119airy_ai_kernel_cudaERNS_18TensorIteratorBaseEENKUlvE_clEvENKUlvE0_clEvEUlfE_j15function_traitsIS7_EEENT1_11result_typeERKT_PrKPcPKT0_PKN3c1010ScalarTypeEi@rel32@lo+4
	s_addc_u32 s5, s5, _ZN2at6native6invokeIZZZNS0_12_GLOBAL__N_119airy_ai_kernel_cudaERNS_18TensorIteratorBaseEENKUlvE_clEvENKUlvE0_clEvEUlfE_j15function_traitsIS7_EEENT1_11result_typeERKT_PrKPcPKT0_PKN3c1010ScalarTypeEi@rel32@hi+12
	s_swappc_b64 s[30:31], s[4:5]
	v_mov_b32_e32 v1, s37
	v_add_co_u32_e32 v2, vcc, s36, v24
	v_addc_co_u32_e32 v3, vcc, 0, v1, vcc
	v_and_b32_e32 v4, 0xff, v23
	v_cmp_gt_i16_e32 vcc, 11, v4
	s_cbranch_vccnz .LBB23_467
; %bb.451:
	v_cmp_lt_i16_e32 vcc, 25, v4
	s_mov_b64 s[8:9], -1
	s_mov_b64 s[4:5], s[72:73]
	s_cbranch_vccz .LBB23_485
; %bb.452:
	v_cmp_lt_i16_e32 vcc, 28, v4
	s_mov_b64 s[6:7], -1
	s_mov_b64 s[4:5], s[72:73]
	s_cbranch_vccz .LBB23_469
; %bb.453:
	v_cmp_lt_i16_e32 vcc, 43, v4
	s_mov_b64 s[4:5], s[72:73]
	s_cbranch_vccz .LBB23_464
; %bb.454:
	v_cmp_lt_i16_e32 vcc, 45, v4
	s_mov_b64 s[4:5], s[72:73]
	s_cbranch_vccz .LBB23_458
; %bb.455:
	v_cmp_eq_u16_e32 vcc, 46, v4
	s_mov_b64 s[4:5], -1
	s_cbranch_vccz .LBB23_457
; %bb.456:
	v_bfe_u32 v1, v0, 16, 1
	s_movk_i32 s4, 0x7fff
	v_add3_u32 v1, v0, v1, s4
	v_lshrrev_b32_e32 v1, 16, v1
	v_mov_b32_e32 v5, 0x7fc0
	v_cmp_o_f32_e32 vcc, v0, v0
	v_cndmask_b32_e32 v1, v5, v1, vcc
	global_store_dword v[2:3], v1, off
	s_mov_b64 s[4:5], 0
.LBB23_457:
	s_mov_b64 s[6:7], 0
.LBB23_458:
	s_and_b64 vcc, exec, s[6:7]
	s_cbranch_vccz .LBB23_463
; %bb.459:
	v_cmp_eq_u16_e32 vcc, 44, v4
	s_mov_b64 s[4:5], -1
	s_cbranch_vccz .LBB23_463
; %bb.460:
	v_bfe_u32 v1, v0, 23, 8
	s_movk_i32 s4, 0xff
	v_cmp_ne_u32_e32 vcc, s4, v1
	v_mov_b32_e32 v5, 0xff
	s_and_saveexec_b64 s[6:7], vcc
; %bb.461:
	s_mov_b32 s4, 0x3fffff
	v_and_b32_e32 v6, 0x400000, v0
	v_and_or_b32 v1, v0, s4, v1
	v_cmp_ne_u32_e32 vcc, 0, v6
	v_cmp_ne_u32_e64 s[4:5], 0, v1
	s_and_b64 s[4:5], vcc, s[4:5]
	v_lshrrev_b32_e32 v5, 23, v0
	v_cndmask_b32_e64 v1, 0, 1, s[4:5]
	v_add_u32_e32 v5, v5, v1
; %bb.462:
	s_or_b64 exec, exec, s[6:7]
	s_mov_b64 s[4:5], 0
	global_store_byte v[2:3], v5, off
.LBB23_463:
	s_mov_b64 s[6:7], 0
.LBB23_464:
	s_and_b64 vcc, exec, s[6:7]
	s_cbranch_vccz .LBB23_468
; %bb.465:
	v_cmp_eq_u16_e32 vcc, 29, v4
	s_mov_b64 s[4:5], -1
	s_cbranch_vccz .LBB23_468
; %bb.466:
	v_trunc_f32_e32 v1, v0
	v_mul_f32_e32 v5, 0x2f800000, v1
	v_floor_f32_e32 v5, v5
	v_fmac_f32_e32 v1, 0xcf800000, v5
	v_cvt_u32_f32_e32 v7, v5
	v_cvt_u32_f32_e32 v6, v1
	s_mov_b64 s[4:5], 0
	s_mov_b64 s[6:7], 0
	global_store_dwordx2 v[2:3], v[6:7], off
	s_branch .LBB23_469
.LBB23_467:
	s_mov_b64 s[8:9], 0
	s_mov_b64 s[6:7], -1
	s_mov_b64 s[4:5], s[72:73]
	s_branch .LBB23_526
.LBB23_468:
	s_mov_b64 s[6:7], 0
.LBB23_469:
	s_and_b64 vcc, exec, s[6:7]
	s_cbranch_vccz .LBB23_484
; %bb.470:
	v_cmp_gt_i16_e32 vcc, 27, v4
	s_mov_b64 s[6:7], -1
	s_cbranch_vccnz .LBB23_476
; %bb.471:
	v_cvt_u32_f32_e32 v1, v0
	v_cmp_lt_i16_e32 vcc, 27, v4
	s_cbranch_vccz .LBB23_473
; %bb.472:
	s_mov_b64 s[6:7], 0
	global_store_dword v[2:3], v1, off
.LBB23_473:
	s_andn2_b64 vcc, exec, s[6:7]
	s_cbranch_vccnz .LBB23_475
; %bb.474:
	global_store_short v[2:3], v1, off
.LBB23_475:
	s_mov_b64 s[6:7], 0
.LBB23_476:
	s_andn2_b64 vcc, exec, s[6:7]
	s_cbranch_vccnz .LBB23_484
; %bb.477:
	v_and_b32_e32 v1, 0x7fffffff, v0
	s_mov_b32 s6, 0x43800000
	v_cmp_gt_u32_e32 vcc, s6, v1
	v_mov_b32_e32 v5, 0x80
	s_and_saveexec_b64 s[6:7], vcc
	s_cbranch_execz .LBB23_483
; %bb.478:
	s_mov_b32 s8, 0x3bffffff
	v_cmp_lt_u32_e32 vcc, s8, v1
	s_mov_b64 s[8:9], 0
                                        ; implicit-def: $vgpr1
	s_and_saveexec_b64 s[10:11], vcc
	s_xor_b64 s[10:11], exec, s[10:11]
	s_cbranch_execz .LBB23_1133
; %bb.479:
	v_bfe_u32 v1, v0, 20, 1
	s_mov_b32 s12, 0x487ffff
	v_add3_u32 v1, v0, v1, s12
	s_mov_b64 s[8:9], exec
	v_lshrrev_b32_e32 v1, 20, v1
	s_or_saveexec_b64 s[10:11], s[10:11]
                                        ; implicit-def: $sgpr12
	s_xor_b64 exec, exec, s[10:11]
	s_cbranch_execnz .LBB23_1134
.LBB23_480:
	s_or_b64 exec, exec, s[10:11]
	v_mov_b32_e32 v5, s12
	s_and_saveexec_b64 s[10:11], s[8:9]
.LBB23_481:
	v_lshrrev_b32_e32 v5, 24, v0
	s_movk_i32 s8, 0x80
	v_and_or_b32 v5, v5, s8, v1
.LBB23_482:
	s_or_b64 exec, exec, s[10:11]
.LBB23_483:
	s_or_b64 exec, exec, s[6:7]
	global_store_byte v[2:3], v5, off
.LBB23_484:
	s_mov_b64 s[8:9], 0
.LBB23_485:
	s_mov_b64 s[6:7], 0
	s_and_b64 vcc, exec, s[8:9]
	s_cbranch_vccz .LBB23_525
; %bb.486:
	v_cmp_lt_i16_e32 vcc, 22, v4
	s_mov_b64 s[8:9], -1
	s_cbranch_vccz .LBB23_518
; %bb.487:
	v_cmp_gt_i16_e32 vcc, 24, v4
	s_cbranch_vccnz .LBB23_507
; %bb.488:
	v_cmp_lt_i16_e32 vcc, 24, v4
	s_cbranch_vccz .LBB23_496
; %bb.489:
	v_and_b32_e32 v1, 0x7fffffff, v0
	s_mov_b32 s8, 0x47800000
	v_cmp_gt_u32_e32 vcc, s8, v1
	v_mov_b32_e32 v5, 0x80
	s_and_saveexec_b64 s[8:9], vcc
	s_cbranch_execz .LBB23_495
; %bb.490:
	s_mov_b32 s10, 0x37ffffff
	v_cmp_lt_u32_e32 vcc, s10, v1
	s_mov_b64 s[10:11], 0
                                        ; implicit-def: $vgpr1
	s_and_saveexec_b64 s[12:13], vcc
	s_xor_b64 s[12:13], exec, s[12:13]
	s_cbranch_execz .LBB23_1137
; %bb.491:
	v_bfe_u32 v1, v0, 21, 1
	s_mov_b32 s14, 0x88fffff
	v_add3_u32 v1, v0, v1, s14
	s_mov_b64 s[10:11], exec
	v_lshrrev_b32_e32 v1, 21, v1
	s_or_saveexec_b64 s[12:13], s[12:13]
                                        ; implicit-def: $sgpr14
	s_xor_b64 exec, exec, s[12:13]
	s_cbranch_execnz .LBB23_1138
.LBB23_492:
	s_or_b64 exec, exec, s[12:13]
	v_mov_b32_e32 v5, s14
	s_and_saveexec_b64 s[12:13], s[10:11]
.LBB23_493:
	v_lshrrev_b32_e32 v5, 24, v0
	s_movk_i32 s10, 0x80
	v_and_or_b32 v5, v5, s10, v1
.LBB23_494:
	s_or_b64 exec, exec, s[12:13]
.LBB23_495:
	s_or_b64 exec, exec, s[8:9]
	s_mov_b64 s[8:9], 0
	global_store_byte v[2:3], v5, off
.LBB23_496:
	s_and_b64 vcc, exec, s[8:9]
	s_cbranch_vccz .LBB23_506
; %bb.497:
	v_and_b32_e32 v5, 0x7fffffff, v0
	s_mov_b32 s8, 0x43f00000
	v_cmp_gt_u32_e32 vcc, s8, v5
                                        ; implicit-def: $vgpr1
	s_and_saveexec_b64 s[8:9], vcc
	s_xor_b64 s[8:9], exec, s[8:9]
	s_cbranch_execz .LBB23_503
; %bb.498:
	s_mov_b32 s10, 0x3c7fffff
	v_cmp_lt_u32_e32 vcc, s10, v5
                                        ; implicit-def: $vgpr1
	s_and_saveexec_b64 s[10:11], vcc
	s_xor_b64 s[10:11], exec, s[10:11]
; %bb.499:
	v_bfe_u32 v1, v0, 20, 1
	s_mov_b32 s12, 0x407ffff
	v_add3_u32 v1, v0, v1, s12
	v_lshrrev_b32_e32 v5, 20, v1
	v_and_b32_e32 v1, 0xff00000, v1
	s_mov_b32 s12, 0x7f00000
	v_mov_b32_e32 v6, 0x7e
	v_cmp_ne_u32_e32 vcc, s12, v1
	v_cndmask_b32_e32 v1, v6, v5, vcc
; %bb.500:
	s_andn2_saveexec_b64 s[10:11], s[10:11]
; %bb.501:
	s_mov_b32 s12, 0x46800000
	v_add_f32_e64 v1, |v0|, s12
; %bb.502:
	s_or_b64 exec, exec, s[10:11]
                                        ; implicit-def: $vgpr5
.LBB23_503:
	s_andn2_saveexec_b64 s[8:9], s[8:9]
; %bb.504:
	s_mov_b32 s10, 0x7f800000
	v_mov_b32_e32 v1, 0x7e
	v_mov_b32_e32 v6, 0x7f
	v_cmp_lt_u32_e32 vcc, s10, v5
	v_cndmask_b32_e32 v1, v1, v6, vcc
; %bb.505:
	s_or_b64 exec, exec, s[8:9]
	v_lshrrev_b32_e32 v5, 24, v0
	s_movk_i32 s8, 0x80
	v_and_or_b32 v1, v5, s8, v1
	global_store_byte v[2:3], v1, off
.LBB23_506:
	s_mov_b64 s[8:9], 0
.LBB23_507:
	s_andn2_b64 vcc, exec, s[8:9]
	s_cbranch_vccnz .LBB23_517
; %bb.508:
	v_and_b32_e32 v5, 0x7fffffff, v0
	s_mov_b32 s8, 0x47800000
	v_cmp_gt_u32_e32 vcc, s8, v5
                                        ; implicit-def: $vgpr1
	s_and_saveexec_b64 s[8:9], vcc
	s_xor_b64 s[8:9], exec, s[8:9]
	s_cbranch_execz .LBB23_514
; %bb.509:
	s_mov_b32 s10, 0x387fffff
	v_cmp_lt_u32_e32 vcc, s10, v5
                                        ; implicit-def: $vgpr1
	s_and_saveexec_b64 s[10:11], vcc
	s_xor_b64 s[10:11], exec, s[10:11]
; %bb.510:
	v_bfe_u32 v1, v0, 21, 1
	s_mov_b32 s12, 0x80fffff
	v_add3_u32 v1, v0, v1, s12
	v_lshrrev_b32_e32 v1, 21, v1
; %bb.511:
	s_andn2_saveexec_b64 s[10:11], s[10:11]
; %bb.512:
	s_mov_b32 s12, 0x43000000
	v_add_f32_e64 v1, |v0|, s12
; %bb.513:
	s_or_b64 exec, exec, s[10:11]
                                        ; implicit-def: $vgpr5
.LBB23_514:
	s_andn2_saveexec_b64 s[8:9], s[8:9]
; %bb.515:
	s_mov_b32 s10, 0x7f800000
	v_mov_b32_e32 v1, 0x7c
	v_mov_b32_e32 v6, 0x7f
	v_cmp_lt_u32_e32 vcc, s10, v5
	v_cndmask_b32_e32 v1, v1, v6, vcc
; %bb.516:
	s_or_b64 exec, exec, s[8:9]
	v_lshrrev_b32_e32 v5, 24, v0
	s_movk_i32 s8, 0x80
	v_and_or_b32 v1, v5, s8, v1
	global_store_byte v[2:3], v1, off
.LBB23_517:
	s_mov_b64 s[8:9], 0
.LBB23_518:
	s_andn2_b64 vcc, exec, s[8:9]
	s_mov_b64 s[8:9], 0
	s_cbranch_vccnz .LBB23_526
; %bb.519:
	v_cmp_lt_i16_e32 vcc, 14, v4
	s_mov_b64 s[10:11], -1
	s_cbranch_vccz .LBB23_523
; %bb.520:
	v_cmp_eq_u16_e32 vcc, 15, v4
	s_mov_b64 s[4:5], -1
	s_cbranch_vccz .LBB23_522
; %bb.521:
	v_bfe_u32 v1, v0, 16, 1
	s_movk_i32 s4, 0x7fff
	v_add3_u32 v1, v0, v1, s4
	v_lshrrev_b32_e32 v1, 16, v1
	v_mov_b32_e32 v5, 0x7fc0
	v_cmp_o_f32_e32 vcc, v0, v0
	v_cndmask_b32_e32 v1, v5, v1, vcc
	global_store_short v[2:3], v1, off
	s_mov_b64 s[4:5], 0
.LBB23_522:
	s_mov_b64 s[10:11], 0
.LBB23_523:
	s_and_b64 vcc, exec, s[10:11]
	s_cbranch_vccz .LBB23_526
; %bb.524:
	v_cmp_ne_u16_e32 vcc, 11, v4
	s_andn2_b64 s[4:5], s[4:5], exec
	s_and_b64 s[10:11], vcc, exec
	s_mov_b64 s[8:9], -1
	s_or_b64 s[4:5], s[4:5], s[10:11]
	s_branch .LBB23_526
.LBB23_525:
	s_mov_b64 s[8:9], 0
.LBB23_526:
	s_and_b64 s[10:11], s[6:7], exec
	s_and_b64 s[6:7], s[8:9], exec
	s_andn2_b64 s[8:9], s[72:73], exec
	s_and_b64 s[4:5], s[4:5], exec
	s_or_b64 s[8:9], s[8:9], s[4:5]
.LBB23_527:
	s_or_b64 exec, exec, s[74:75]
	s_and_b64 s[4:5], s[6:7], exec
	s_andn2_b64 s[6:7], s[72:73], exec
	s_and_b64 s[8:9], s[8:9], exec
	s_and_b64 s[10:11], s[10:11], exec
	s_or_b64 s[72:73], s[6:7], s[8:9]
.LBB23_528:
	s_or_b64 exec, exec, s[70:71]
	s_and_b64 s[6:7], s[10:11], exec
	s_andn2_b64 s[8:9], s[66:67], exec
	s_and_b64 s[10:11], s[72:73], exec
	s_and_b64 s[4:5], s[4:5], exec
	s_or_b64 s[66:67], s[8:9], s[10:11]
.LBB23_529:
	s_or_b64 exec, exec, s[68:69]
	s_and_b64 s[68:69], s[4:5], exec
	s_andn2_b64 s[4:5], s[62:63], exec
	s_and_b64 s[8:9], s[66:67], exec
	s_and_b64 s[6:7], s[6:7], exec
	s_or_b64 s[62:63], s[4:5], s[8:9]
	s_or_b64 exec, exec, s[64:65]
	s_mov_b64 s[4:5], 0
	s_and_saveexec_b64 s[8:9], s[62:63]
	s_cbranch_execz .LBB23_148
.LBB23_530:
	s_mov_b64 s[4:5], exec
	s_andn2_b64 s[68:69], s[68:69], exec
	s_trap 2
	s_or_b64 exec, exec, s[8:9]
	s_and_saveexec_b64 s[8:9], s[68:69]
	s_xor_b64 s[8:9], exec, s[8:9]
	s_cbranch_execnz .LBB23_149
.LBB23_531:
	s_or_b64 exec, exec, s[8:9]
	s_and_saveexec_b64 s[8:9], s[6:7]
	s_xor_b64 s[6:7], exec, s[8:9]
	s_cbranch_execz .LBB23_569
.LBB23_532:
	v_cmp_gt_i16_e32 vcc, 5, v4
	s_mov_b64 s[8:9], -1
	s_cbranch_vccnz .LBB23_553
; %bb.533:
	v_cmp_gt_i16_e32 vcc, 8, v4
	s_cbranch_vccnz .LBB23_543
; %bb.534:
	v_cmp_gt_i16_e32 vcc, 9, v4
	s_cbranch_vccnz .LBB23_540
; %bb.535:
	v_cmp_lt_i16_e32 vcc, 9, v4
	s_cbranch_vccz .LBB23_537
; %bb.536:
	v_mov_b32_e32 v8, 0
	v_cvt_f64_f32_e32 v[6:7], v0
	v_mov_b32_e32 v9, v8
	s_mov_b64 s[8:9], 0
	global_store_dwordx4 v[2:3], v[6:9], off
.LBB23_537:
	s_andn2_b64 vcc, exec, s[8:9]
	s_cbranch_vccnz .LBB23_539
; %bb.538:
	v_mov_b32_e32 v1, 0
	global_store_dwordx2 v[2:3], v[0:1], off
.LBB23_539:
	s_mov_b64 s[8:9], 0
.LBB23_540:
	s_andn2_b64 vcc, exec, s[8:9]
	s_cbranch_vccnz .LBB23_542
; %bb.541:
	v_cvt_f16_f32_e32 v1, v0
	global_store_dword v[2:3], v1, off
.LBB23_542:
	s_mov_b64 s[8:9], 0
.LBB23_543:
	s_andn2_b64 vcc, exec, s[8:9]
	s_cbranch_vccnz .LBB23_552
; %bb.544:
	v_cmp_gt_i16_e32 vcc, 6, v4
	s_mov_b64 s[8:9], -1
	s_cbranch_vccnz .LBB23_550
; %bb.545:
	v_cmp_lt_i16_e32 vcc, 6, v4
	s_cbranch_vccz .LBB23_547
; %bb.546:
	v_cvt_f64_f32_e32 v[6:7], v0
	s_mov_b64 s[8:9], 0
	global_store_dwordx2 v[2:3], v[6:7], off
.LBB23_547:
	s_andn2_b64 vcc, exec, s[8:9]
	s_cbranch_vccnz .LBB23_549
; %bb.548:
	global_store_dword v[2:3], v0, off
.LBB23_549:
	s_mov_b64 s[8:9], 0
.LBB23_550:
	s_andn2_b64 vcc, exec, s[8:9]
	s_cbranch_vccnz .LBB23_552
; %bb.551:
	v_cvt_f16_f32_e32 v1, v0
	global_store_short v[2:3], v1, off
.LBB23_552:
	s_mov_b64 s[8:9], 0
.LBB23_553:
	s_andn2_b64 vcc, exec, s[8:9]
	s_cbranch_vccnz .LBB23_569
; %bb.554:
	v_cmp_gt_i16_e32 vcc, 2, v4
	s_mov_b64 s[8:9], -1
	s_cbranch_vccnz .LBB23_564
; %bb.555:
	v_cmp_gt_i16_e32 vcc, 3, v4
	s_cbranch_vccnz .LBB23_561
; %bb.556:
	v_cmp_lt_i16_e32 vcc, 3, v4
	s_cbranch_vccz .LBB23_558
; %bb.557:
	v_trunc_f32_e32 v1, v0
	s_mov_b32 s8, 0x2f800000
	v_mul_f32_e64 v5, |v1|, s8
	v_floor_f32_e32 v5, v5
	s_mov_b32 s8, 0xcf800000
	v_cvt_u32_f32_e32 v6, v5
	v_fma_f32 v5, v5, s8, |v1|
	v_cvt_u32_f32_e32 v5, v5
	v_ashrrev_i32_e32 v1, 31, v1
	v_xor_b32_e32 v7, v6, v1
	s_mov_b64 s[8:9], 0
	v_xor_b32_e32 v5, v5, v1
	v_sub_co_u32_e32 v6, vcc, v5, v1
	v_subb_co_u32_e32 v7, vcc, v7, v1, vcc
	global_store_dwordx2 v[2:3], v[6:7], off
.LBB23_558:
	s_andn2_b64 vcc, exec, s[8:9]
	s_cbranch_vccnz .LBB23_560
; %bb.559:
	v_cvt_i32_f32_e32 v1, v0
	global_store_dword v[2:3], v1, off
.LBB23_560:
	s_mov_b64 s[8:9], 0
.LBB23_561:
	s_andn2_b64 vcc, exec, s[8:9]
	s_cbranch_vccnz .LBB23_563
; %bb.562:
	v_cvt_i32_f32_e32 v1, v0
	global_store_short v[2:3], v1, off
.LBB23_563:
	s_mov_b64 s[8:9], 0
.LBB23_564:
	s_andn2_b64 vcc, exec, s[8:9]
	s_cbranch_vccnz .LBB23_569
; %bb.565:
	v_cmp_lt_i16_e32 vcc, 0, v4
	s_mov_b64 s[8:9], -1
	s_cbranch_vccz .LBB23_567
; %bb.566:
	v_cvt_i32_f32_e32 v1, v0
	s_mov_b64 s[8:9], 0
	global_store_byte v[2:3], v1, off
.LBB23_567:
	s_andn2_b64 vcc, exec, s[8:9]
	s_cbranch_vccnz .LBB23_569
; %bb.568:
	v_trunc_f32_e32 v0, v0
	s_mov_b32 s8, 0x2f800000
	v_mul_f32_e64 v1, |v0|, s8
	v_floor_f32_e32 v1, v1
	s_mov_b32 s8, 0xcf800000
	v_fma_f32 v1, v1, s8, |v0|
	v_cvt_u32_f32_e32 v1, v1
	v_ashrrev_i32_e32 v0, 31, v0
	v_xor_b32_e32 v1, v1, v0
	v_sub_u32_e32 v0, v1, v0
	global_store_byte v[2:3], v0, off
.LBB23_569:
	s_or_b64 exec, exec, s[6:7]
	s_waitcnt lgkmcnt(0)
	s_and_b64 s[40:41], s[4:5], exec
                                        ; implicit-def: $vgpr1
                                        ; implicit-def: $vgpr26
.LBB23_570:
	s_or_saveexec_b64 s[42:43], s[52:53]
	s_mov_b64 s[4:5], 0
                                        ; implicit-def: $vgpr4
                                        ; implicit-def: $vgpr2_vgpr3
                                        ; implicit-def: $vgpr0
	s_xor_b64 exec, exec, s[42:43]
	s_cbranch_execz .LBB23_1078
; %bb.571:
	v_cndmask_b32_e64 v0, 0, 1, s[50:51]
	v_cmp_ne_u32_e64 s[4:5], 1, v0
	s_andn2_b64 vcc, exec, s[50:51]
	s_cbranch_vccnz .LBB23_578
; %bb.572:
	s_mov_b32 s6, 0
	s_cmp_lg_u32 s33, 0
	v_mov_b32_e32 v2, 0
	v_mov_b32_e32 v38, 0
	s_cbranch_scc0 .LBB23_577
; %bb.573:
	s_min_u32 s38, s76, 15
	s_add_i32 s38, s38, 1
	s_cmp_eq_u32 s76, 2
	s_cbranch_scc1 .LBB23_579
; %bb.574:
	s_add_u32 s30, s34, 0xc4
	s_addc_u32 s31, s35, 0
	s_and_b32 s6, s38, 28
	s_mov_b32 s7, 0
	v_mov_b32_e32 v38, 0
	s_mov_b64 s[36:37], s[34:35]
	v_mov_b32_e32 v0, v26
	v_mov_b32_e32 v2, 0
.LBB23_575:                             ; =>This Inner Loop Header: Depth=1
	s_load_dwordx8 s[16:23], s[36:37], 0x4
	s_load_dwordx4 s[24:27], s[36:37], 0x24
	s_load_dwordx8 s[8:15], s[30:31], 0x0
	s_add_u32 s36, s36, 48
	s_addc_u32 s37, s37, 0
	s_waitcnt lgkmcnt(0)
	v_mul_hi_u32 v3, s17, v0
	v_add_u32_e32 v3, v0, v3
	v_lshrrev_b32_e32 v3, s18, v3
	v_mul_lo_u32 v4, v3, s16
	v_mul_hi_u32 v5, s20, v3
	v_sub_u32_e32 v0, v0, v4
	v_add_u32_e32 v4, v3, v5
	v_lshrrev_b32_e32 v4, s21, v4
	v_mul_lo_u32 v6, v4, s19
	v_mul_hi_u32 v7, s23, v4
	v_sub_u32_e32 v3, v3, v6
	v_add_u32_e32 v6, v4, v7
	v_mul_lo_u32 v5, v0, s9
	v_mul_lo_u32 v0, v0, s8
	;; [unrolled: 1-line block ×4, first 2 shown]
	v_lshrrev_b32_e32 v6, s24, v6
	v_add3_u32 v3, v0, v38, v3
	v_add3_u32 v2, v5, v2, v7
	v_mul_lo_u32 v0, v6, s22
	v_mul_hi_u32 v5, s26, v6
	v_sub_u32_e32 v0, v4, v0
	v_add_u32_e32 v4, v6, v5
	v_mul_lo_u32 v5, v0, s12
	v_mul_lo_u32 v7, v0, s13
	v_lshrrev_b32_e32 v0, s27, v4
	s_add_i32 s7, s7, 4
	v_mul_lo_u32 v4, v0, s25
	s_add_u32 s30, s30, 32
	v_sub_u32_e32 v4, v6, v4
	s_addc_u32 s31, s31, 0
	v_mul_lo_u32 v6, v4, s14
	v_mul_lo_u32 v4, v4, s15
	s_cmp_lg_u32 s6, s7
	v_add3_u32 v2, v7, v2, v4
	v_add3_u32 v38, v5, v3, v6
	s_cbranch_scc1 .LBB23_575
; %bb.576:
	v_mov_b32_e32 v39, v2
	s_and_b32 s10, s38, 3
	s_cmp_eq_u32 s10, 0
	s_cbranch_scc0 .LBB23_580
.LBB23_577:
	s_cbranch_execz .LBB23_583
	s_branch .LBB23_585
.LBB23_578:
                                        ; implicit-def: $vgpr2
                                        ; implicit-def: $vgpr38
	s_branch .LBB23_583
.LBB23_579:
	s_mov_b32 s7, s6
	v_pk_mov_b32 v[38:39], s[6:7], s[6:7] op_sel:[0,1]
                                        ; implicit-def: $vgpr2
	v_mov_b32_e32 v0, v26
	s_and_b32 s10, s38, 3
	s_cmp_eq_u32 s10, 0
	s_cbranch_scc1 .LBB23_577
.LBB23_580:
	s_lshl_b32 s7, s6, 3
	s_add_u32 s7, s7, s34
	s_addc_u32 s9, 0, s35
	s_add_u32 s8, s7, 0xc4
	s_addc_u32 s9, s9, 0
	s_mul_i32 s6, s6, 12
	s_add_u32 s6, s34, s6
	s_addc_u32 s7, 0, s35
.LBB23_581:                             ; =>This Inner Loop Header: Depth=1
	s_load_dwordx2 s[12:13], s[6:7], 0x4
	s_load_dword s11, s[6:7], 0xc
	s_load_dwordx2 s[14:15], s[8:9], 0x0
	s_add_u32 s6, s6, 12
	s_addc_u32 s7, s7, 0
	s_waitcnt lgkmcnt(0)
	v_mul_hi_u32 v3, s13, v0
	v_add_u32_e32 v3, v0, v3
	v_lshrrev_b32_e32 v3, s11, v3
	v_mul_lo_u32 v4, v3, s12
	v_mov_b32_e32 v2, v39
	s_add_u32 s8, s8, 8
	v_sub_u32_e32 v4, v0, v4
	s_addc_u32 s9, s9, 0
	s_add_i32 s10, s10, -1
	v_mov_b32_e32 v0, v3
	v_mad_u64_u32 v[2:3], s[12:13], v4, s15, v[2:3]
	v_mad_u64_u32 v[38:39], s[12:13], v4, s14, v[38:39]
	s_cmp_lg_u32 s10, 0
	v_mov_b32_e32 v39, v2
	s_cbranch_scc1 .LBB23_581
; %bb.582:
	v_mov_b32_e32 v2, v39
	s_cbranch_execnz .LBB23_585
.LBB23_583:
	s_load_dwordx4 s[8:11], s[34:35], 0x4
	s_load_dwordx2 s[6:7], s[34:35], 0xc4
	s_cmp_lt_u32 s33, 2
	s_waitcnt lgkmcnt(0)
	v_mul_hi_u32 v0, s9, v26
	v_add_u32_e32 v0, v26, v0
	v_lshrrev_b32_e32 v0, s10, v0
	v_mul_lo_u32 v2, v0, s8
	v_sub_u32_e32 v3, v26, v2
	v_mul_lo_u32 v2, v3, s7
	v_mul_lo_u32 v38, v3, s6
	s_cbranch_scc1 .LBB23_585
; %bb.584:
	s_load_dwordx4 s[8:11], s[34:35], 0x10
	s_load_dwordx2 s[6:7], s[34:35], 0xcc
	s_waitcnt lgkmcnt(0)
	v_mul_hi_u32 v3, s9, v0
	v_add_u32_e32 v3, v0, v3
	v_lshrrev_b32_e32 v3, s10, v3
	v_mul_lo_u32 v3, v3, s8
	v_sub_u32_e32 v0, v0, v3
	v_mad_u64_u32 v[38:39], s[8:9], v0, s6, v[38:39]
	v_mad_u64_u32 v[2:3], s[6:7], v0, s7, v[2:3]
.LBB23_585:
	s_and_b64 vcc, exec, s[4:5]
	v_add_u32_e32 v0, 0x80, v26
	s_cbranch_vccnz .LBB23_592
; %bb.586:
	s_mov_b32 s6, 0
	s_cmp_lg_u32 s33, 0
	v_mov_b32_e32 v22, 0
	v_mov_b32_e32 v36, 0
	s_cbranch_scc0 .LBB23_591
; %bb.587:
	s_min_u32 s38, s76, 15
	s_add_i32 s38, s38, 1
	s_cmp_eq_u32 s76, 2
	s_cbranch_scc1 .LBB23_593
; %bb.588:
	s_add_u32 s30, s34, 0xc4
	s_addc_u32 s31, s35, 0
	s_and_b32 s6, s38, 28
	s_mov_b32 s7, 0
	v_mov_b32_e32 v36, 0
	s_mov_b64 s[36:37], s[34:35]
	v_mov_b32_e32 v3, v0
	v_mov_b32_e32 v22, 0
.LBB23_589:                             ; =>This Inner Loop Header: Depth=1
	s_load_dwordx8 s[16:23], s[36:37], 0x4
	s_load_dwordx4 s[24:27], s[36:37], 0x24
	s_load_dwordx8 s[8:15], s[30:31], 0x0
	s_add_u32 s36, s36, 48
	s_addc_u32 s37, s37, 0
	s_waitcnt lgkmcnt(0)
	v_mul_hi_u32 v4, s17, v3
	v_add_u32_e32 v4, v3, v4
	v_lshrrev_b32_e32 v4, s18, v4
	v_mul_lo_u32 v5, v4, s16
	v_mul_hi_u32 v6, s20, v4
	v_sub_u32_e32 v3, v3, v5
	v_add_u32_e32 v5, v4, v6
	v_lshrrev_b32_e32 v5, s21, v5
	v_mul_lo_u32 v7, v5, s19
	v_mul_hi_u32 v8, s23, v5
	v_sub_u32_e32 v4, v4, v7
	v_add_u32_e32 v7, v5, v8
	v_mul_lo_u32 v6, v3, s9
	v_mul_lo_u32 v3, v3, s8
	;; [unrolled: 1-line block ×4, first 2 shown]
	v_lshrrev_b32_e32 v7, s24, v7
	v_add3_u32 v4, v3, v36, v4
	v_add3_u32 v6, v6, v22, v8
	v_mul_lo_u32 v3, v7, s22
	v_mul_hi_u32 v8, s26, v7
	v_sub_u32_e32 v3, v5, v3
	v_add_u32_e32 v5, v7, v8
	v_mul_lo_u32 v8, v3, s12
	v_mul_lo_u32 v9, v3, s13
	v_lshrrev_b32_e32 v3, s27, v5
	s_add_i32 s7, s7, 4
	v_mul_lo_u32 v5, v3, s25
	s_add_u32 s30, s30, 32
	v_sub_u32_e32 v5, v7, v5
	s_addc_u32 s31, s31, 0
	v_mul_lo_u32 v7, v5, s14
	v_mul_lo_u32 v5, v5, s15
	s_cmp_lg_u32 s6, s7
	v_add3_u32 v22, v9, v6, v5
	v_add3_u32 v36, v8, v4, v7
	s_cbranch_scc1 .LBB23_589
; %bb.590:
	v_mov_b32_e32 v37, v22
	s_and_b32 s10, s38, 3
	s_cmp_eq_u32 s10, 0
	s_cbranch_scc0 .LBB23_594
.LBB23_591:
	s_cbranch_execz .LBB23_597
	s_branch .LBB23_599
.LBB23_592:
                                        ; implicit-def: $vgpr22
                                        ; implicit-def: $vgpr36
	s_branch .LBB23_597
.LBB23_593:
	s_mov_b32 s7, s6
	v_pk_mov_b32 v[36:37], s[6:7], s[6:7] op_sel:[0,1]
                                        ; implicit-def: $vgpr22
	v_mov_b32_e32 v3, v0
	s_and_b32 s10, s38, 3
	s_cmp_eq_u32 s10, 0
	s_cbranch_scc1 .LBB23_591
.LBB23_594:
	s_lshl_b32 s7, s6, 3
	s_add_u32 s7, s7, s34
	s_addc_u32 s9, 0, s35
	s_add_u32 s8, s7, 0xc4
	s_addc_u32 s9, s9, 0
	s_mul_i32 s6, s6, 12
	s_add_u32 s6, s34, s6
	s_addc_u32 s7, 0, s35
.LBB23_595:                             ; =>This Inner Loop Header: Depth=1
	s_load_dwordx2 s[12:13], s[6:7], 0x4
	s_load_dword s11, s[6:7], 0xc
	s_load_dwordx2 s[14:15], s[8:9], 0x0
	s_add_u32 s6, s6, 12
	s_addc_u32 s7, s7, 0
	s_waitcnt lgkmcnt(0)
	v_mul_hi_u32 v5, s13, v3
	v_add_u32_e32 v5, v3, v5
	v_lshrrev_b32_e32 v5, s11, v5
	v_mul_lo_u32 v6, v5, s12
	v_mov_b32_e32 v4, v37
	s_add_u32 s8, s8, 8
	v_sub_u32_e32 v6, v3, v6
	s_addc_u32 s9, s9, 0
	s_add_i32 s10, s10, -1
	v_mov_b32_e32 v3, v5
	v_mad_u64_u32 v[4:5], s[12:13], v6, s15, v[4:5]
	v_mad_u64_u32 v[36:37], s[12:13], v6, s14, v[36:37]
	s_cmp_lg_u32 s10, 0
	v_mov_b32_e32 v37, v4
	s_cbranch_scc1 .LBB23_595
; %bb.596:
	v_mov_b32_e32 v22, v37
	s_cbranch_execnz .LBB23_599
.LBB23_597:
	s_load_dwordx4 s[8:11], s[34:35], 0x4
	s_load_dwordx2 s[6:7], s[34:35], 0xc4
	s_cmp_lt_u32 s33, 2
	s_waitcnt lgkmcnt(0)
	v_mul_hi_u32 v3, s9, v0
	v_add_u32_e32 v3, v0, v3
	v_lshrrev_b32_e32 v3, s10, v3
	v_mul_lo_u32 v4, v3, s8
	v_sub_u32_e32 v0, v0, v4
	v_mul_lo_u32 v22, v0, s7
	v_mul_lo_u32 v36, v0, s6
	s_cbranch_scc1 .LBB23_599
; %bb.598:
	s_load_dwordx4 s[8:11], s[34:35], 0x10
	s_load_dwordx2 s[6:7], s[34:35], 0xcc
	s_waitcnt lgkmcnt(0)
	v_mul_hi_u32 v0, s9, v3
	v_add_u32_e32 v0, v3, v0
	v_lshrrev_b32_e32 v0, s10, v0
	v_mul_lo_u32 v0, v0, s8
	v_sub_u32_e32 v0, v3, v0
	v_mad_u64_u32 v[36:37], s[8:9], v0, s6, v[36:37]
	v_mad_u64_u32 v[22:23], s[6:7], v0, s7, v[22:23]
.LBB23_599:
	s_and_b64 vcc, exec, s[4:5]
	v_add_u32_e32 v0, 0x100, v26
	s_cbranch_vccnz .LBB23_606
; %bb.600:
	s_mov_b32 s6, 0
	s_cmp_lg_u32 s33, 0
	v_mov_b32_e32 v28, 0
	v_mov_b32_e32 v34, 0
	s_cbranch_scc0 .LBB23_605
; %bb.601:
	s_min_u32 s38, s76, 15
	s_add_i32 s38, s38, 1
	s_cmp_eq_u32 s76, 2
	s_cbranch_scc1 .LBB23_607
; %bb.602:
	s_add_u32 s30, s34, 0xc4
	s_addc_u32 s31, s35, 0
	s_and_b32 s6, s38, 28
	s_mov_b32 s7, 0
	v_mov_b32_e32 v34, 0
	s_mov_b64 s[36:37], s[34:35]
	v_mov_b32_e32 v3, v0
	v_mov_b32_e32 v28, 0
.LBB23_603:                             ; =>This Inner Loop Header: Depth=1
	s_load_dwordx8 s[16:23], s[36:37], 0x4
	s_load_dwordx4 s[24:27], s[36:37], 0x24
	s_load_dwordx8 s[8:15], s[30:31], 0x0
	s_add_u32 s36, s36, 48
	s_addc_u32 s37, s37, 0
	s_waitcnt lgkmcnt(0)
	v_mul_hi_u32 v4, s17, v3
	v_add_u32_e32 v4, v3, v4
	v_lshrrev_b32_e32 v4, s18, v4
	v_mul_lo_u32 v5, v4, s16
	v_mul_hi_u32 v6, s20, v4
	v_sub_u32_e32 v3, v3, v5
	v_add_u32_e32 v5, v4, v6
	v_lshrrev_b32_e32 v5, s21, v5
	v_mul_lo_u32 v7, v5, s19
	v_mul_hi_u32 v8, s23, v5
	v_sub_u32_e32 v4, v4, v7
	v_add_u32_e32 v7, v5, v8
	v_mul_lo_u32 v6, v3, s9
	v_mul_lo_u32 v3, v3, s8
	;; [unrolled: 1-line block ×4, first 2 shown]
	v_lshrrev_b32_e32 v7, s24, v7
	v_add3_u32 v4, v3, v34, v4
	v_add3_u32 v6, v6, v28, v8
	v_mul_lo_u32 v3, v7, s22
	v_mul_hi_u32 v8, s26, v7
	v_sub_u32_e32 v3, v5, v3
	v_add_u32_e32 v5, v7, v8
	v_mul_lo_u32 v8, v3, s12
	v_mul_lo_u32 v9, v3, s13
	v_lshrrev_b32_e32 v3, s27, v5
	s_add_i32 s7, s7, 4
	v_mul_lo_u32 v5, v3, s25
	s_add_u32 s30, s30, 32
	v_sub_u32_e32 v5, v7, v5
	s_addc_u32 s31, s31, 0
	v_mul_lo_u32 v7, v5, s14
	v_mul_lo_u32 v5, v5, s15
	s_cmp_lg_u32 s6, s7
	v_add3_u32 v28, v9, v6, v5
	v_add3_u32 v34, v8, v4, v7
	s_cbranch_scc1 .LBB23_603
; %bb.604:
	v_mov_b32_e32 v35, v28
	s_and_b32 s10, s38, 3
	s_cmp_eq_u32 s10, 0
	s_cbranch_scc0 .LBB23_608
.LBB23_605:
	s_cbranch_execz .LBB23_611
	s_branch .LBB23_613
.LBB23_606:
                                        ; implicit-def: $vgpr28
                                        ; implicit-def: $vgpr34
	s_branch .LBB23_611
.LBB23_607:
	s_mov_b32 s7, s6
	v_pk_mov_b32 v[34:35], s[6:7], s[6:7] op_sel:[0,1]
                                        ; implicit-def: $vgpr28
	v_mov_b32_e32 v3, v0
	s_and_b32 s10, s38, 3
	s_cmp_eq_u32 s10, 0
	s_cbranch_scc1 .LBB23_605
.LBB23_608:
	s_lshl_b32 s7, s6, 3
	s_add_u32 s7, s7, s34
	s_addc_u32 s9, 0, s35
	s_add_u32 s8, s7, 0xc4
	s_addc_u32 s9, s9, 0
	s_mul_i32 s6, s6, 12
	s_add_u32 s6, s34, s6
	s_addc_u32 s7, 0, s35
.LBB23_609:                             ; =>This Inner Loop Header: Depth=1
	s_load_dwordx2 s[12:13], s[6:7], 0x4
	s_load_dword s11, s[6:7], 0xc
	s_load_dwordx2 s[14:15], s[8:9], 0x0
	s_add_u32 s6, s6, 12
	s_addc_u32 s7, s7, 0
	s_waitcnt lgkmcnt(0)
	v_mul_hi_u32 v5, s13, v3
	v_add_u32_e32 v5, v3, v5
	v_lshrrev_b32_e32 v5, s11, v5
	v_mul_lo_u32 v6, v5, s12
	v_mov_b32_e32 v4, v35
	s_add_u32 s8, s8, 8
	v_sub_u32_e32 v6, v3, v6
	s_addc_u32 s9, s9, 0
	s_add_i32 s10, s10, -1
	v_mov_b32_e32 v3, v5
	v_mad_u64_u32 v[4:5], s[12:13], v6, s15, v[4:5]
	v_mad_u64_u32 v[34:35], s[12:13], v6, s14, v[34:35]
	s_cmp_lg_u32 s10, 0
	v_mov_b32_e32 v35, v4
	s_cbranch_scc1 .LBB23_609
; %bb.610:
	v_mov_b32_e32 v28, v35
	s_cbranch_execnz .LBB23_613
.LBB23_611:
	s_load_dwordx4 s[8:11], s[34:35], 0x4
	s_load_dwordx2 s[6:7], s[34:35], 0xc4
	s_cmp_lt_u32 s33, 2
	s_waitcnt lgkmcnt(0)
	v_mul_hi_u32 v3, s9, v0
	v_add_u32_e32 v3, v0, v3
	v_lshrrev_b32_e32 v3, s10, v3
	v_mul_lo_u32 v4, v3, s8
	v_sub_u32_e32 v0, v0, v4
	v_mul_lo_u32 v28, v0, s7
	v_mul_lo_u32 v34, v0, s6
	s_cbranch_scc1 .LBB23_613
; %bb.612:
	s_load_dwordx4 s[8:11], s[34:35], 0x10
	s_load_dwordx2 s[6:7], s[34:35], 0xcc
	s_waitcnt lgkmcnt(0)
	v_mul_hi_u32 v0, s9, v3
	v_add_u32_e32 v0, v3, v0
	v_lshrrev_b32_e32 v0, s10, v0
	v_mul_lo_u32 v0, v0, s8
	v_sub_u32_e32 v0, v3, v0
	v_mad_u64_u32 v[34:35], s[8:9], v0, s6, v[34:35]
	v_mad_u64_u32 v[28:29], s[6:7], v0, s7, v[28:29]
.LBB23_613:
	s_and_b64 vcc, exec, s[4:5]
	s_cbranch_vccnz .LBB23_620
; %bb.614:
	s_mov_b32 s24, 0
	s_cmp_lg_u32 s33, 0
	v_mov_b32_e32 v30, 0
	v_mov_b32_e32 v32, 0
	s_cbranch_scc0 .LBB23_619
; %bb.615:
	s_min_u32 s36, s76, 15
	s_add_i32 s36, s36, 1
	s_cmp_eq_u32 s76, 2
	s_cbranch_scc1 .LBB23_621
; %bb.616:
	s_add_u32 s26, s34, 0xc4
	s_addc_u32 s27, s35, 0
	s_and_b32 s24, s36, 28
	s_mov_b32 s25, 0
	v_mov_b32_e32 v32, 0
	s_mov_b64 s[30:31], s[34:35]
	v_mov_b32_e32 v0, v1
	v_mov_b32_e32 v30, 0
.LBB23_617:                             ; =>This Inner Loop Header: Depth=1
	s_load_dwordx8 s[12:19], s[30:31], 0x4
	s_load_dwordx4 s[20:23], s[30:31], 0x24
	s_load_dwordx8 s[4:11], s[26:27], 0x0
	s_add_u32 s30, s30, 48
	s_addc_u32 s31, s31, 0
	s_waitcnt lgkmcnt(0)
	v_mul_hi_u32 v3, s13, v0
	v_add_u32_e32 v3, v0, v3
	v_lshrrev_b32_e32 v3, s14, v3
	v_mul_lo_u32 v4, v3, s12
	v_mul_hi_u32 v5, s16, v3
	v_sub_u32_e32 v0, v0, v4
	v_add_u32_e32 v4, v3, v5
	v_lshrrev_b32_e32 v4, s17, v4
	v_mul_lo_u32 v6, v4, s15
	v_mul_hi_u32 v7, s19, v4
	v_sub_u32_e32 v3, v3, v6
	v_add_u32_e32 v6, v4, v7
	v_mul_lo_u32 v5, v0, s5
	v_mul_lo_u32 v0, v0, s4
	;; [unrolled: 1-line block ×4, first 2 shown]
	v_lshrrev_b32_e32 v6, s20, v6
	v_add3_u32 v3, v0, v32, v3
	v_add3_u32 v5, v5, v30, v7
	v_mul_lo_u32 v0, v6, s18
	v_mul_hi_u32 v7, s22, v6
	v_sub_u32_e32 v0, v4, v0
	v_add_u32_e32 v4, v6, v7
	v_mul_lo_u32 v7, v0, s8
	v_mul_lo_u32 v8, v0, s9
	v_lshrrev_b32_e32 v0, s23, v4
	s_add_i32 s25, s25, 4
	v_mul_lo_u32 v4, v0, s21
	s_add_u32 s26, s26, 32
	v_sub_u32_e32 v4, v6, v4
	s_addc_u32 s27, s27, 0
	v_mul_lo_u32 v6, v4, s10
	v_mul_lo_u32 v4, v4, s11
	s_cmp_lg_u32 s24, s25
	v_add3_u32 v30, v8, v5, v4
	v_add3_u32 v32, v7, v3, v6
	s_cbranch_scc1 .LBB23_617
; %bb.618:
	v_mov_b32_e32 v33, v30
	s_and_b32 s8, s36, 3
	s_cmp_eq_u32 s8, 0
	s_cbranch_scc0 .LBB23_622
.LBB23_619:
	s_cbranch_execz .LBB23_625
	s_branch .LBB23_627
.LBB23_620:
                                        ; implicit-def: $vgpr30
                                        ; implicit-def: $vgpr32
	s_branch .LBB23_625
.LBB23_621:
	s_mov_b32 s25, s24
	v_pk_mov_b32 v[32:33], s[24:25], s[24:25] op_sel:[0,1]
                                        ; implicit-def: $vgpr30
	v_mov_b32_e32 v0, v1
	s_and_b32 s8, s36, 3
	s_cmp_eq_u32 s8, 0
	s_cbranch_scc1 .LBB23_619
.LBB23_622:
	s_lshl_b32 s4, s24, 3
	s_add_u32 s4, s4, s34
	s_addc_u32 s5, 0, s35
	s_add_u32 s4, s4, 0xc4
	s_addc_u32 s5, s5, 0
	s_mul_i32 s6, s24, 12
	s_add_u32 s6, s34, s6
	s_addc_u32 s7, 0, s35
.LBB23_623:                             ; =>This Inner Loop Header: Depth=1
	s_load_dwordx2 s[10:11], s[6:7], 0x4
	s_load_dword s9, s[6:7], 0xc
	s_load_dwordx2 s[12:13], s[4:5], 0x0
	s_add_u32 s6, s6, 12
	s_addc_u32 s7, s7, 0
	s_waitcnt lgkmcnt(0)
	v_mul_hi_u32 v3, s11, v0
	v_add_u32_e32 v3, v0, v3
	v_lshrrev_b32_e32 v3, s9, v3
	v_mul_lo_u32 v5, v3, s10
	v_mov_b32_e32 v4, v33
	s_add_u32 s4, s4, 8
	v_sub_u32_e32 v6, v0, v5
	s_addc_u32 s5, s5, 0
	s_add_i32 s8, s8, -1
	v_mad_u64_u32 v[4:5], s[10:11], v6, s13, v[4:5]
	v_mad_u64_u32 v[32:33], s[10:11], v6, s12, v[32:33]
	s_cmp_lg_u32 s8, 0
	v_mov_b32_e32 v0, v3
	v_mov_b32_e32 v33, v4
	s_cbranch_scc1 .LBB23_623
; %bb.624:
	v_mov_b32_e32 v30, v33
	s_cbranch_execnz .LBB23_627
.LBB23_625:
	s_load_dwordx4 s[4:7], s[34:35], 0x4
	s_load_dwordx2 s[8:9], s[34:35], 0xc4
	s_cmp_lt_u32 s33, 2
	s_waitcnt lgkmcnt(0)
	v_mul_hi_u32 v0, s5, v1
	v_add_u32_e32 v0, v1, v0
	v_lshrrev_b32_e32 v0, s6, v0
	v_mul_lo_u32 v3, v0, s4
	v_sub_u32_e32 v1, v1, v3
	v_mul_lo_u32 v30, v1, s9
	v_mul_lo_u32 v32, v1, s8
	s_cbranch_scc1 .LBB23_627
; %bb.626:
	s_load_dwordx4 s[4:7], s[34:35], 0x10
	s_load_dwordx2 s[8:9], s[34:35], 0xcc
	s_waitcnt lgkmcnt(0)
	v_mul_hi_u32 v1, s5, v0
	v_add_u32_e32 v1, v0, v1
	v_lshrrev_b32_e32 v1, s6, v1
	v_mul_lo_u32 v1, v1, s4
	v_sub_u32_e32 v0, v0, v1
	v_mad_u64_u32 v[32:33], s[4:5], v0, s8, v[32:33]
	v_mad_u64_u32 v[30:31], s[4:5], v0, s9, v[30:31]
.LBB23_627:
	s_load_dword s33, s[28:29], 0x160
	s_load_dwordx4 s[36:39], s[34:35], 0x148
	s_getpc_b64 s[28:29]
	s_add_u32 s28, s28, _ZN2at6native6invokeIZZZNS0_12_GLOBAL__N_119airy_ai_kernel_cudaERNS_18TensorIteratorBaseEENKUlvE_clEvENKUlvE0_clEvEUlfE_j15function_traitsIS7_EEENT1_11result_typeERKT_PrKPcPKT0_PKN3c1010ScalarTypeEi@rel32@lo+4
	s_addc_u32 s29, s29, _ZN2at6native6invokeIZZZNS0_12_GLOBAL__N_119airy_ai_kernel_cudaERNS_18TensorIteratorBaseEENKUlvE_clEvENKUlvE0_clEvEUlfE_j15function_traitsIS7_EEENT1_11result_typeERKT_PrKPcPKT0_PKN3c1010ScalarTypeEi@rel32@hi+12
	s_waitcnt lgkmcnt(0)
	s_lshr_b32 s34, s33, 16
	v_mov_b32_e32 v0, s38
	v_mov_b32_e32 v1, s39
	v_mov_b32_e32 v3, s34
	s_swappc_b64 s[30:31], s[28:29]
	v_mov_b32_e32 v26, v0
	v_mov_b32_e32 v0, s38
	v_mov_b32_e32 v1, s39
	v_mov_b32_e32 v2, v22
	v_mov_b32_e32 v3, s34
	s_swappc_b64 s[30:31], s[28:29]
	v_mov_b32_e32 v24, v0
	v_mov_b32_e32 v0, s38
	v_mov_b32_e32 v1, s39
	v_mov_b32_e32 v2, v28
	v_mov_b32_e32 v3, s34
	s_swappc_b64 s[30:31], s[28:29]
	v_mov_b32_e32 v22, v0
	v_mov_b32_e32 v0, s38
	v_mov_b32_e32 v1, s39
	v_mov_b32_e32 v2, v30
	;; [unrolled: 1-line block ×3, first 2 shown]
	s_swappc_b64 s[30:31], s[28:29]
	v_mov_b32_e32 v1, s37
	v_add_co_u32_e32 v2, vcc, s36, v38
	v_addc_co_u32_e32 v3, vcc, 0, v1, vcc
	s_lshr_b32 s16, s33, 8
	v_mov_b32_e32 v1, 11
	v_cmp_lt_i16_sdwa s[4:5], s16, v1 src0_sel:BYTE_0 src1_sel:DWORD
	s_and_b64 vcc, exec, s[4:5]
	s_cbranch_vccnz .LBB23_634
; %bb.628:
	v_mov_b32_e32 v1, 25
	v_cmp_gt_i16_sdwa s[4:5], s16, v1 src0_sel:BYTE_0 src1_sel:DWORD
	s_mov_b64 s[6:7], -1
	s_mov_b64 s[8:9], 0
	s_and_b64 vcc, exec, s[4:5]
	s_mov_b64 s[10:11], 0
	s_mov_b64 s[4:5], 0
	s_cbranch_vccz .LBB23_665
; %bb.629:
	v_mov_b32_e32 v1, 28
	v_cmp_gt_i16_sdwa s[4:5], s16, v1 src0_sel:BYTE_0 src1_sel:DWORD
	s_and_b64 vcc, exec, s[4:5]
	s_cbranch_vccz .LBB23_636
; %bb.630:
	v_mov_b32_e32 v1, 43
	v_cmp_gt_i16_sdwa s[4:5], s16, v1 src0_sel:BYTE_0 src1_sel:DWORD
	s_and_b64 vcc, exec, s[4:5]
	;; [unrolled: 5-line block ×3, first 2 shown]
	s_cbranch_vccz .LBB23_638
; %bb.632:
	v_mov_b32_e32 v1, 46
	v_cmp_eq_u16_sdwa s[10:11], s16, v1 src0_sel:BYTE_0 src1_sel:DWORD
	s_mov_b64 s[4:5], -1
	s_mov_b64 s[6:7], 0
	s_and_b64 vcc, exec, s[10:11]
	s_mov_b64 s[10:11], 0
	s_cbranch_vccz .LBB23_639
; %bb.633:
	v_bfe_u32 v1, v26, 16, 1
	s_movk_i32 s4, 0x7fff
	v_add3_u32 v1, v26, v1, s4
	v_lshrrev_b32_e32 v1, 16, v1
	v_mov_b32_e32 v4, 0x7fc0
	v_cmp_o_f32_e32 vcc, v26, v26
	v_cndmask_b32_e32 v1, v4, v1, vcc
	global_store_dword v[2:3], v1, off
	s_mov_b64 s[4:5], 0
	s_mov_b64 s[10:11], -1
	s_branch .LBB23_639
.LBB23_634:
	s_mov_b64 s[10:11], 0
	s_mov_b64 s[6:7], s[40:41]
	s_cbranch_execnz .LBB23_709
.LBB23_635:
	s_andn2_b64 vcc, exec, s[10:11]
	s_cbranch_vccz .LBB23_747
	s_branch .LBB23_1076
.LBB23_636:
	s_mov_b64 s[4:5], 0
	s_branch .LBB23_648
.LBB23_637:
	s_mov_b64 s[4:5], 0
	s_and_b64 vcc, exec, s[6:7]
	s_cbranch_vccnz .LBB23_645
	s_branch .LBB23_647
.LBB23_638:
	s_mov_b64 s[4:5], 0
.LBB23_639:
	s_and_b64 vcc, exec, s[6:7]
	s_cbranch_vccz .LBB23_644
; %bb.640:
	v_mov_b32_e32 v1, 44
	v_cmp_eq_u16_sdwa s[6:7], s16, v1 src0_sel:BYTE_0 src1_sel:DWORD
	s_mov_b64 s[4:5], -1
	s_and_b64 vcc, exec, s[6:7]
	s_cbranch_vccz .LBB23_644
; %bb.641:
	v_bfe_u32 v1, v26, 23, 8
	s_movk_i32 s4, 0xff
	v_cmp_ne_u32_e32 vcc, s4, v1
	v_mov_b32_e32 v4, 0xff
	s_and_saveexec_b64 s[6:7], vcc
; %bb.642:
	s_mov_b32 s4, 0x3fffff
	v_and_b32_e32 v5, 0x400000, v26
	v_and_or_b32 v1, v26, s4, v1
	v_cmp_ne_u32_e32 vcc, 0, v5
	v_cmp_ne_u32_e64 s[4:5], 0, v1
	s_and_b64 s[4:5], vcc, s[4:5]
	v_lshrrev_b32_e32 v4, 23, v26
	v_cndmask_b32_e64 v1, 0, 1, s[4:5]
	v_add_u32_e32 v4, v4, v1
; %bb.643:
	s_or_b64 exec, exec, s[6:7]
	s_mov_b64 s[4:5], 0
	s_mov_b64 s[10:11], -1
	global_store_byte v[2:3], v4, off
.LBB23_644:
	s_branch .LBB23_647
.LBB23_645:
	v_mov_b32_e32 v1, 29
	v_cmp_eq_u16_sdwa s[6:7], s16, v1 src0_sel:BYTE_0 src1_sel:DWORD
	s_mov_b64 s[4:5], -1
	s_and_b64 vcc, exec, s[6:7]
	s_cbranch_vccz .LBB23_647
; %bb.646:
	v_trunc_f32_e32 v1, v26
	v_mul_f32_e32 v4, 0x2f800000, v1
	v_floor_f32_e32 v4, v4
	v_fmac_f32_e32 v1, 0xcf800000, v4
	v_cvt_u32_f32_e32 v5, v4
	v_cvt_u32_f32_e32 v4, v1
	s_mov_b64 s[4:5], 0
	s_mov_b64 s[10:11], -1
	s_mov_b64 s[6:7], 0
	global_store_dwordx2 v[2:3], v[4:5], off
	s_branch .LBB23_648
.LBB23_647:
	s_mov_b64 s[6:7], 0
.LBB23_648:
	s_and_b64 vcc, exec, s[6:7]
	s_cbranch_vccz .LBB23_664
; %bb.649:
	v_mov_b32_e32 v1, 27
	v_cmp_lt_i16_sdwa s[10:11], s16, v1 src0_sel:BYTE_0 src1_sel:DWORD
	s_mov_b64 s[6:7], -1
	s_and_b64 vcc, exec, s[10:11]
	s_cbranch_vccnz .LBB23_655
; %bb.650:
	v_cmp_gt_i16_sdwa s[10:11], s16, v1 src0_sel:BYTE_0 src1_sel:DWORD
	s_and_b64 vcc, exec, s[10:11]
	s_cbranch_vccz .LBB23_652
; %bb.651:
	v_cvt_u32_f32_e32 v1, v26
	s_mov_b64 s[6:7], 0
	global_store_dword v[2:3], v1, off
.LBB23_652:
	s_andn2_b64 vcc, exec, s[6:7]
	s_cbranch_vccnz .LBB23_654
; %bb.653:
	v_cvt_u32_f32_e32 v1, v26
	global_store_short v[2:3], v1, off
.LBB23_654:
	s_mov_b64 s[6:7], 0
.LBB23_655:
	s_andn2_b64 vcc, exec, s[6:7]
	s_cbranch_vccnz .LBB23_663
; %bb.656:
	v_and_b32_e32 v1, 0x7fffffff, v26
	s_mov_b32 s6, 0x43800000
	v_cmp_gt_u32_e32 vcc, s6, v1
	v_mov_b32_e32 v4, 0x80
	s_and_saveexec_b64 s[6:7], vcc
	s_cbranch_execz .LBB23_662
; %bb.657:
	s_mov_b32 s10, 0x3bffffff
	v_cmp_lt_u32_e32 vcc, s10, v1
	s_mov_b64 s[10:11], 0
                                        ; implicit-def: $vgpr1
	s_and_saveexec_b64 s[12:13], vcc
	s_xor_b64 s[12:13], exec, s[12:13]
	s_cbranch_execz .LBB23_757
; %bb.658:
	v_bfe_u32 v1, v26, 20, 1
	s_mov_b32 s14, 0x487ffff
	v_add3_u32 v1, v26, v1, s14
	s_mov_b64 s[10:11], exec
	v_lshrrev_b32_e32 v1, 20, v1
	s_or_saveexec_b64 s[12:13], s[12:13]
                                        ; implicit-def: $sgpr14
	s_xor_b64 exec, exec, s[12:13]
	s_cbranch_execnz .LBB23_758
.LBB23_659:
	s_or_b64 exec, exec, s[12:13]
	v_mov_b32_e32 v4, s14
	s_and_saveexec_b64 s[12:13], s[10:11]
.LBB23_660:
	v_lshrrev_b32_e32 v4, 24, v26
	s_movk_i32 s10, 0x80
	v_and_or_b32 v4, v4, s10, v1
.LBB23_661:
	s_or_b64 exec, exec, s[12:13]
.LBB23_662:
	s_or_b64 exec, exec, s[6:7]
	global_store_byte v[2:3], v4, off
.LBB23_663:
	s_mov_b64 s[10:11], -1
.LBB23_664:
	s_mov_b64 s[6:7], 0
.LBB23_665:
	s_and_b64 vcc, exec, s[6:7]
	s_cbranch_vccz .LBB23_705
; %bb.666:
	v_mov_b32_e32 v1, 22
	v_cmp_gt_i16_sdwa s[8:9], s16, v1 src0_sel:BYTE_0 src1_sel:DWORD
	s_mov_b64 s[6:7], -1
	s_and_b64 vcc, exec, s[8:9]
	s_cbranch_vccz .LBB23_698
; %bb.667:
	v_mov_b32_e32 v1, 24
	v_cmp_lt_i16_sdwa s[8:9], s16, v1 src0_sel:BYTE_0 src1_sel:DWORD
	s_and_b64 vcc, exec, s[8:9]
	s_cbranch_vccnz .LBB23_687
; %bb.668:
	v_cmp_gt_i16_sdwa s[8:9], s16, v1 src0_sel:BYTE_0 src1_sel:DWORD
	s_and_b64 vcc, exec, s[8:9]
	s_cbranch_vccz .LBB23_676
; %bb.669:
	v_and_b32_e32 v1, 0x7fffffff, v26
	s_mov_b32 s6, 0x47800000
	v_cmp_gt_u32_e32 vcc, s6, v1
	v_mov_b32_e32 v4, 0x80
	s_and_saveexec_b64 s[6:7], vcc
	s_cbranch_execz .LBB23_675
; %bb.670:
	s_mov_b32 s8, 0x37ffffff
	v_cmp_lt_u32_e32 vcc, s8, v1
	s_mov_b64 s[8:9], 0
                                        ; implicit-def: $vgpr1
	s_and_saveexec_b64 s[10:11], vcc
	s_xor_b64 s[10:11], exec, s[10:11]
	s_cbranch_execz .LBB23_761
; %bb.671:
	v_bfe_u32 v1, v26, 21, 1
	s_mov_b32 s12, 0x88fffff
	v_add3_u32 v1, v26, v1, s12
	s_mov_b64 s[8:9], exec
	v_lshrrev_b32_e32 v1, 21, v1
	s_or_saveexec_b64 s[10:11], s[10:11]
                                        ; implicit-def: $sgpr12
	s_xor_b64 exec, exec, s[10:11]
	s_cbranch_execnz .LBB23_762
.LBB23_672:
	s_or_b64 exec, exec, s[10:11]
	v_mov_b32_e32 v4, s12
	s_and_saveexec_b64 s[10:11], s[8:9]
.LBB23_673:
	v_lshrrev_b32_e32 v4, 24, v26
	s_movk_i32 s8, 0x80
	v_and_or_b32 v4, v4, s8, v1
.LBB23_674:
	s_or_b64 exec, exec, s[10:11]
.LBB23_675:
	s_or_b64 exec, exec, s[6:7]
	s_mov_b64 s[6:7], 0
	global_store_byte v[2:3], v4, off
.LBB23_676:
	s_and_b64 vcc, exec, s[6:7]
	s_cbranch_vccz .LBB23_686
; %bb.677:
	v_and_b32_e32 v4, 0x7fffffff, v26
	s_mov_b32 s6, 0x43f00000
	v_cmp_gt_u32_e32 vcc, s6, v4
                                        ; implicit-def: $vgpr1
	s_and_saveexec_b64 s[6:7], vcc
	s_xor_b64 s[6:7], exec, s[6:7]
	s_cbranch_execz .LBB23_683
; %bb.678:
	s_mov_b32 s8, 0x3c7fffff
	v_cmp_lt_u32_e32 vcc, s8, v4
                                        ; implicit-def: $vgpr1
	s_and_saveexec_b64 s[8:9], vcc
	s_xor_b64 s[8:9], exec, s[8:9]
; %bb.679:
	v_bfe_u32 v1, v26, 20, 1
	s_mov_b32 s10, 0x407ffff
	v_add3_u32 v1, v26, v1, s10
	v_lshrrev_b32_e32 v4, 20, v1
	v_and_b32_e32 v1, 0xff00000, v1
	s_mov_b32 s10, 0x7f00000
	v_mov_b32_e32 v5, 0x7e
	v_cmp_ne_u32_e32 vcc, s10, v1
	v_cndmask_b32_e32 v1, v5, v4, vcc
; %bb.680:
	s_andn2_saveexec_b64 s[8:9], s[8:9]
; %bb.681:
	s_mov_b32 s10, 0x46800000
	v_add_f32_e64 v1, |v26|, s10
; %bb.682:
	s_or_b64 exec, exec, s[8:9]
                                        ; implicit-def: $vgpr4
.LBB23_683:
	s_andn2_saveexec_b64 s[6:7], s[6:7]
; %bb.684:
	s_mov_b32 s8, 0x7f800000
	v_mov_b32_e32 v1, 0x7e
	v_mov_b32_e32 v5, 0x7f
	v_cmp_lt_u32_e32 vcc, s8, v4
	v_cndmask_b32_e32 v1, v1, v5, vcc
; %bb.685:
	s_or_b64 exec, exec, s[6:7]
	v_lshrrev_b32_e32 v4, 24, v26
	s_movk_i32 s6, 0x80
	v_and_or_b32 v1, v4, s6, v1
	global_store_byte v[2:3], v1, off
.LBB23_686:
	s_mov_b64 s[6:7], 0
.LBB23_687:
	s_andn2_b64 vcc, exec, s[6:7]
	s_cbranch_vccnz .LBB23_697
; %bb.688:
	v_and_b32_e32 v4, 0x7fffffff, v26
	s_mov_b32 s6, 0x47800000
	v_cmp_gt_u32_e32 vcc, s6, v4
                                        ; implicit-def: $vgpr1
	s_and_saveexec_b64 s[6:7], vcc
	s_xor_b64 s[6:7], exec, s[6:7]
	s_cbranch_execz .LBB23_694
; %bb.689:
	s_mov_b32 s8, 0x387fffff
	v_cmp_lt_u32_e32 vcc, s8, v4
                                        ; implicit-def: $vgpr1
	s_and_saveexec_b64 s[8:9], vcc
	s_xor_b64 s[8:9], exec, s[8:9]
; %bb.690:
	v_bfe_u32 v1, v26, 21, 1
	s_mov_b32 s10, 0x80fffff
	v_add3_u32 v1, v26, v1, s10
	v_lshrrev_b32_e32 v1, 21, v1
; %bb.691:
	s_andn2_saveexec_b64 s[8:9], s[8:9]
; %bb.692:
	s_mov_b32 s10, 0x43000000
	v_add_f32_e64 v1, |v26|, s10
; %bb.693:
	s_or_b64 exec, exec, s[8:9]
                                        ; implicit-def: $vgpr4
.LBB23_694:
	s_andn2_saveexec_b64 s[6:7], s[6:7]
; %bb.695:
	s_mov_b32 s8, 0x7f800000
	v_mov_b32_e32 v1, 0x7c
	v_mov_b32_e32 v5, 0x7f
	v_cmp_lt_u32_e32 vcc, s8, v4
	v_cndmask_b32_e32 v1, v1, v5, vcc
; %bb.696:
	s_or_b64 exec, exec, s[6:7]
	v_lshrrev_b32_e32 v4, 24, v26
	s_movk_i32 s6, 0x80
	v_and_or_b32 v1, v4, s6, v1
	global_store_byte v[2:3], v1, off
.LBB23_697:
	s_mov_b64 s[6:7], 0
	s_mov_b64 s[10:11], -1
.LBB23_698:
	s_andn2_b64 vcc, exec, s[6:7]
	s_mov_b64 s[8:9], 0
	s_cbranch_vccnz .LBB23_705
; %bb.699:
	v_mov_b32_e32 v1, 14
	v_cmp_gt_i16_sdwa s[8:9], s16, v1 src0_sel:BYTE_0 src1_sel:DWORD
	s_mov_b64 s[6:7], -1
	s_and_b64 vcc, exec, s[8:9]
	s_cbranch_vccz .LBB23_703
; %bb.700:
	v_mov_b32_e32 v1, 15
	v_cmp_eq_u16_sdwa s[6:7], s16, v1 src0_sel:BYTE_0 src1_sel:DWORD
	s_mov_b64 s[4:5], -1
	s_and_b64 vcc, exec, s[6:7]
	s_cbranch_vccz .LBB23_702
; %bb.701:
	v_bfe_u32 v1, v26, 16, 1
	s_movk_i32 s4, 0x7fff
	v_add3_u32 v1, v26, v1, s4
	v_lshrrev_b32_e32 v1, 16, v1
	v_mov_b32_e32 v4, 0x7fc0
	v_cmp_o_f32_e32 vcc, v26, v26
	v_cndmask_b32_e32 v1, v4, v1, vcc
	global_store_short v[2:3], v1, off
	s_mov_b64 s[4:5], 0
	s_mov_b64 s[10:11], -1
.LBB23_702:
	s_mov_b64 s[6:7], 0
.LBB23_703:
	s_mov_b64 s[8:9], 0
	s_and_b64 vcc, exec, s[6:7]
	s_cbranch_vccz .LBB23_705
; %bb.704:
	v_mov_b32_e32 v1, 11
	v_cmp_ne_u16_sdwa s[4:5], s16, v1 src0_sel:BYTE_0 src1_sel:DWORD
	s_mov_b64 s[8:9], -1
.LBB23_705:
	s_and_b64 vcc, exec, s[4:5]
	s_mov_b64 s[6:7], s[40:41]
	s_cbranch_vccnz .LBB23_760
; %bb.706:
	s_andn2_b64 vcc, exec, s[8:9]
	s_cbranch_vccnz .LBB23_708
.LBB23_707:
	v_cmp_neq_f32_e32 vcc, 0, v26
	v_cndmask_b32_e64 v1, 0, 1, vcc
	global_store_byte v[2:3], v1, off
	s_mov_b64 s[10:11], -1
.LBB23_708:
	s_branch .LBB23_635
.LBB23_709:
	v_mov_b32_e32 v1, 5
	v_cmp_lt_i16_sdwa s[8:9], s16, v1 src0_sel:BYTE_0 src1_sel:DWORD
	s_mov_b64 s[4:5], -1
	s_and_b64 vcc, exec, s[8:9]
	s_cbranch_vccnz .LBB23_730
; %bb.710:
	v_mov_b32_e32 v1, 8
	v_cmp_lt_i16_sdwa s[8:9], s16, v1 src0_sel:BYTE_0 src1_sel:DWORD
	s_and_b64 vcc, exec, s[8:9]
	s_cbranch_vccnz .LBB23_720
; %bb.711:
	v_mov_b32_e32 v1, 9
	v_cmp_lt_i16_sdwa s[8:9], s16, v1 src0_sel:BYTE_0 src1_sel:DWORD
	s_and_b64 vcc, exec, s[8:9]
	s_cbranch_vccnz .LBB23_717
; %bb.712:
	v_cmp_gt_i16_sdwa s[8:9], s16, v1 src0_sel:BYTE_0 src1_sel:DWORD
	s_and_b64 vcc, exec, s[8:9]
	s_cbranch_vccz .LBB23_714
; %bb.713:
	v_mov_b32_e32 v6, 0
	v_cvt_f64_f32_e32 v[4:5], v26
	v_mov_b32_e32 v7, v6
	global_store_dwordx4 v[2:3], v[4:7], off
	s_mov_b64 s[4:5], 0
.LBB23_714:
	s_andn2_b64 vcc, exec, s[4:5]
	s_cbranch_vccnz .LBB23_716
; %bb.715:
	v_mov_b32_e32 v27, 0
	global_store_dwordx2 v[2:3], v[26:27], off
.LBB23_716:
	s_mov_b64 s[4:5], 0
.LBB23_717:
	s_andn2_b64 vcc, exec, s[4:5]
	s_cbranch_vccnz .LBB23_719
; %bb.718:
	v_cvt_f16_f32_e32 v1, v26
	global_store_dword v[2:3], v1, off
.LBB23_719:
	s_mov_b64 s[4:5], 0
.LBB23_720:
	s_andn2_b64 vcc, exec, s[4:5]
	s_cbranch_vccnz .LBB23_729
; %bb.721:
	v_mov_b32_e32 v1, 6
	v_cmp_lt_i16_sdwa s[8:9], s16, v1 src0_sel:BYTE_0 src1_sel:DWORD
	s_mov_b64 s[4:5], -1
	s_and_b64 vcc, exec, s[8:9]
	s_cbranch_vccnz .LBB23_727
; %bb.722:
	v_cmp_gt_i16_sdwa s[8:9], s16, v1 src0_sel:BYTE_0 src1_sel:DWORD
	s_and_b64 vcc, exec, s[8:9]
	s_cbranch_vccz .LBB23_724
; %bb.723:
	v_cvt_f64_f32_e32 v[4:5], v26
	global_store_dwordx2 v[2:3], v[4:5], off
	s_mov_b64 s[4:5], 0
.LBB23_724:
	s_andn2_b64 vcc, exec, s[4:5]
	s_cbranch_vccnz .LBB23_726
; %bb.725:
	global_store_dword v[2:3], v26, off
.LBB23_726:
	s_mov_b64 s[4:5], 0
.LBB23_727:
	s_andn2_b64 vcc, exec, s[4:5]
	s_cbranch_vccnz .LBB23_729
; %bb.728:
	v_cvt_f16_f32_e32 v1, v26
	global_store_short v[2:3], v1, off
.LBB23_729:
	s_mov_b64 s[4:5], 0
.LBB23_730:
	s_andn2_b64 vcc, exec, s[4:5]
	s_cbranch_vccnz .LBB23_746
; %bb.731:
	v_mov_b32_e32 v1, 2
	v_cmp_lt_i16_sdwa s[8:9], s16, v1 src0_sel:BYTE_0 src1_sel:DWORD
	s_mov_b64 s[4:5], -1
	s_and_b64 vcc, exec, s[8:9]
	s_cbranch_vccnz .LBB23_741
; %bb.732:
	v_mov_b32_e32 v1, 3
	v_cmp_lt_i16_sdwa s[8:9], s16, v1 src0_sel:BYTE_0 src1_sel:DWORD
	s_and_b64 vcc, exec, s[8:9]
	s_cbranch_vccnz .LBB23_738
; %bb.733:
	v_cmp_gt_i16_sdwa s[8:9], s16, v1 src0_sel:BYTE_0 src1_sel:DWORD
	s_and_b64 vcc, exec, s[8:9]
	s_cbranch_vccz .LBB23_735
; %bb.734:
	v_trunc_f32_e32 v1, v26
	s_mov_b32 s4, 0x2f800000
	v_mul_f32_e64 v4, |v1|, s4
	v_floor_f32_e32 v4, v4
	s_mov_b32 s4, 0xcf800000
	v_cvt_u32_f32_e32 v5, v4
	v_fma_f32 v4, v4, s4, |v1|
	v_cvt_u32_f32_e32 v4, v4
	v_ashrrev_i32_e32 v1, 31, v1
	v_xor_b32_e32 v5, v5, v1
	s_mov_b64 s[4:5], 0
	v_xor_b32_e32 v4, v4, v1
	v_sub_co_u32_e32 v4, vcc, v4, v1
	v_subb_co_u32_e32 v5, vcc, v5, v1, vcc
	global_store_dwordx2 v[2:3], v[4:5], off
.LBB23_735:
	s_andn2_b64 vcc, exec, s[4:5]
	s_cbranch_vccnz .LBB23_737
; %bb.736:
	v_cvt_i32_f32_e32 v1, v26
	global_store_dword v[2:3], v1, off
.LBB23_737:
	s_mov_b64 s[4:5], 0
.LBB23_738:
	s_andn2_b64 vcc, exec, s[4:5]
	s_cbranch_vccnz .LBB23_740
; %bb.739:
	v_cvt_i32_f32_e32 v1, v26
	global_store_short v[2:3], v1, off
.LBB23_740:
	s_mov_b64 s[4:5], 0
.LBB23_741:
	s_andn2_b64 vcc, exec, s[4:5]
	s_cbranch_vccnz .LBB23_746
; %bb.742:
	v_mov_b32_e32 v1, 0
	v_cmp_gt_i16_sdwa s[8:9], s16, v1 src0_sel:BYTE_0 src1_sel:DWORD
	s_mov_b64 s[4:5], -1
	s_and_b64 vcc, exec, s[8:9]
	s_cbranch_vccz .LBB23_744
; %bb.743:
	v_cvt_i32_f32_e32 v1, v26
	s_mov_b64 s[4:5], 0
	global_store_byte v[2:3], v1, off
.LBB23_744:
	s_andn2_b64 vcc, exec, s[4:5]
	s_cbranch_vccnz .LBB23_746
; %bb.745:
	v_trunc_f32_e32 v1, v26
	s_mov_b32 s4, 0x2f800000
	v_mul_f32_e64 v4, |v1|, s4
	v_floor_f32_e32 v4, v4
	s_mov_b32 s4, 0xcf800000
	v_fma_f32 v4, v4, s4, |v1|
	v_cvt_u32_f32_e32 v4, v4
	v_ashrrev_i32_e32 v1, 31, v1
	v_xor_b32_e32 v4, v4, v1
	v_sub_u32_e32 v1, v4, v1
	global_store_byte v[2:3], v1, off
.LBB23_746:
.LBB23_747:
	v_mov_b32_e32 v1, s37
	v_add_co_u32_e32 v2, vcc, s36, v36
	v_addc_co_u32_e32 v3, vcc, 0, v1, vcc
	v_mov_b32_e32 v1, 11
	v_cmp_lt_i16_sdwa s[4:5], s16, v1 src0_sel:BYTE_0 src1_sel:DWORD
	s_and_b64 vcc, exec, s[4:5]
	s_cbranch_vccnz .LBB23_754
; %bb.748:
	v_mov_b32_e32 v1, 25
	v_cmp_gt_i16_sdwa s[4:5], s16, v1 src0_sel:BYTE_0 src1_sel:DWORD
	s_mov_b64 s[12:13], -1
	s_mov_b64 s[8:9], 0
	s_and_b64 vcc, exec, s[4:5]
	s_mov_b64 s[10:11], 0
	s_mov_b64 s[4:5], 0
	s_cbranch_vccz .LBB23_791
; %bb.749:
	v_mov_b32_e32 v1, 28
	v_cmp_gt_i16_sdwa s[4:5], s16, v1 src0_sel:BYTE_0 src1_sel:DWORD
	s_and_b64 vcc, exec, s[4:5]
	s_cbranch_vccz .LBB23_756
; %bb.750:
	v_mov_b32_e32 v1, 43
	v_cmp_gt_i16_sdwa s[4:5], s16, v1 src0_sel:BYTE_0 src1_sel:DWORD
	s_and_b64 vcc, exec, s[4:5]
	;; [unrolled: 5-line block ×3, first 2 shown]
	s_cbranch_vccz .LBB23_763
; %bb.752:
	v_mov_b32_e32 v1, 46
	v_cmp_eq_u16_sdwa s[10:11], s16, v1 src0_sel:BYTE_0 src1_sel:DWORD
	s_mov_b64 s[4:5], -1
	s_mov_b64 s[12:13], 0
	s_and_b64 vcc, exec, s[10:11]
	s_mov_b64 s[10:11], 0
	s_cbranch_vccz .LBB23_764
; %bb.753:
	v_bfe_u32 v1, v24, 16, 1
	s_movk_i32 s4, 0x7fff
	v_add3_u32 v1, v24, v1, s4
	v_lshrrev_b32_e32 v1, 16, v1
	v_mov_b32_e32 v4, 0x7fc0
	v_cmp_o_f32_e32 vcc, v24, v24
	v_cndmask_b32_e32 v1, v4, v1, vcc
	global_store_dword v[2:3], v1, off
	s_mov_b64 s[4:5], 0
	s_mov_b64 s[10:11], -1
	s_branch .LBB23_764
.LBB23_754:
	s_mov_b64 s[10:11], 0
	s_cbranch_execnz .LBB23_835
.LBB23_755:
	s_andn2_b64 vcc, exec, s[10:11]
	s_cbranch_vccz .LBB23_873
	s_branch .LBB23_1076
.LBB23_756:
	s_mov_b64 s[4:5], 0
	s_branch .LBB23_774
.LBB23_757:
	s_or_saveexec_b64 s[12:13], s[12:13]
                                        ; implicit-def: $sgpr14
	s_xor_b64 exec, exec, s[12:13]
	s_cbranch_execz .LBB23_659
.LBB23_758:
	s_mov_b32 s14, 0x46000000
	v_add_f32_e64 v1, |v26|, s14
	v_and_b32_e32 v1, 0xff, v1
	v_cmp_ne_u32_e32 vcc, 0, v1
	s_andn2_b64 s[10:11], s[10:11], exec
	s_and_b64 s[18:19], vcc, exec
	s_mov_b32 s14, 0
	s_or_b64 s[10:11], s[10:11], s[18:19]
	s_or_b64 exec, exec, s[12:13]
	v_mov_b32_e32 v4, s14
	s_and_saveexec_b64 s[12:13], s[10:11]
	s_cbranch_execnz .LBB23_660
	s_branch .LBB23_661
.LBB23_759:
	s_mov_b64 s[4:5], 0
	s_branch .LBB23_770
.LBB23_760:
	s_or_b64 s[6:7], s[40:41], exec
	s_trap 2
	s_cbranch_execz .LBB23_707
	s_branch .LBB23_708
.LBB23_761:
	s_or_saveexec_b64 s[10:11], s[10:11]
                                        ; implicit-def: $sgpr12
	s_xor_b64 exec, exec, s[10:11]
	s_cbranch_execz .LBB23_672
.LBB23_762:
	s_mov_b32 s12, 0x42800000
	v_add_f32_e64 v1, |v26|, s12
	v_and_b32_e32 v1, 0xff, v1
	v_cmp_ne_u32_e32 vcc, 0, v1
	s_andn2_b64 s[8:9], s[8:9], exec
	s_and_b64 s[14:15], vcc, exec
	s_mov_b32 s12, 0
	s_or_b64 s[8:9], s[8:9], s[14:15]
	s_or_b64 exec, exec, s[10:11]
	v_mov_b32_e32 v4, s12
	s_and_saveexec_b64 s[10:11], s[8:9]
	s_cbranch_execnz .LBB23_673
	s_branch .LBB23_674
.LBB23_763:
	s_mov_b64 s[4:5], 0
.LBB23_764:
	s_and_b64 vcc, exec, s[12:13]
	s_cbranch_vccz .LBB23_769
; %bb.765:
	v_mov_b32_e32 v1, 44
	v_cmp_eq_u16_sdwa s[12:13], s16, v1 src0_sel:BYTE_0 src1_sel:DWORD
	s_mov_b64 s[4:5], -1
	s_and_b64 vcc, exec, s[12:13]
	s_cbranch_vccz .LBB23_769
; %bb.766:
	v_bfe_u32 v1, v24, 23, 8
	s_movk_i32 s4, 0xff
	v_cmp_ne_u32_e32 vcc, s4, v1
	v_mov_b32_e32 v4, 0xff
	s_and_saveexec_b64 s[10:11], vcc
; %bb.767:
	s_mov_b32 s4, 0x3fffff
	v_and_b32_e32 v5, 0x400000, v24
	v_and_or_b32 v1, v24, s4, v1
	v_cmp_ne_u32_e32 vcc, 0, v5
	v_cmp_ne_u32_e64 s[4:5], 0, v1
	s_and_b64 s[4:5], vcc, s[4:5]
	v_lshrrev_b32_e32 v4, 23, v24
	v_cndmask_b32_e64 v1, 0, 1, s[4:5]
	v_add_u32_e32 v4, v4, v1
; %bb.768:
	s_or_b64 exec, exec, s[10:11]
	s_mov_b64 s[4:5], 0
	s_mov_b64 s[10:11], -1
	global_store_byte v[2:3], v4, off
.LBB23_769:
	s_mov_b64 s[12:13], 0
.LBB23_770:
	s_and_b64 vcc, exec, s[12:13]
	s_cbranch_vccz .LBB23_773
; %bb.771:
	v_mov_b32_e32 v1, 29
	v_cmp_eq_u16_sdwa s[12:13], s16, v1 src0_sel:BYTE_0 src1_sel:DWORD
	s_mov_b64 s[4:5], -1
	s_and_b64 vcc, exec, s[12:13]
	s_cbranch_vccz .LBB23_773
; %bb.772:
	v_trunc_f32_e32 v1, v24
	v_mul_f32_e32 v4, 0x2f800000, v1
	v_floor_f32_e32 v4, v4
	v_fmac_f32_e32 v1, 0xcf800000, v4
	v_cvt_u32_f32_e32 v5, v4
	v_cvt_u32_f32_e32 v4, v1
	s_mov_b64 s[4:5], 0
	s_mov_b64 s[10:11], -1
	s_mov_b64 s[12:13], 0
	global_store_dwordx2 v[2:3], v[4:5], off
	s_branch .LBB23_774
.LBB23_773:
	s_mov_b64 s[12:13], 0
.LBB23_774:
	s_and_b64 vcc, exec, s[12:13]
	s_cbranch_vccz .LBB23_790
; %bb.775:
	v_mov_b32_e32 v1, 27
	v_cmp_lt_i16_sdwa s[12:13], s16, v1 src0_sel:BYTE_0 src1_sel:DWORD
	s_mov_b64 s[10:11], -1
	s_and_b64 vcc, exec, s[12:13]
	s_cbranch_vccnz .LBB23_781
; %bb.776:
	v_cmp_gt_i16_sdwa s[12:13], s16, v1 src0_sel:BYTE_0 src1_sel:DWORD
	s_and_b64 vcc, exec, s[12:13]
	s_cbranch_vccz .LBB23_778
; %bb.777:
	v_cvt_u32_f32_e32 v1, v24
	s_mov_b64 s[10:11], 0
	global_store_dword v[2:3], v1, off
.LBB23_778:
	s_andn2_b64 vcc, exec, s[10:11]
	s_cbranch_vccnz .LBB23_780
; %bb.779:
	v_cvt_u32_f32_e32 v1, v24
	global_store_short v[2:3], v1, off
.LBB23_780:
	s_mov_b64 s[10:11], 0
.LBB23_781:
	s_andn2_b64 vcc, exec, s[10:11]
	s_cbranch_vccnz .LBB23_789
; %bb.782:
	v_and_b32_e32 v1, 0x7fffffff, v24
	s_mov_b32 s10, 0x43800000
	v_cmp_gt_u32_e32 vcc, s10, v1
	v_mov_b32_e32 v4, 0x80
	s_and_saveexec_b64 s[10:11], vcc
	s_cbranch_execz .LBB23_788
; %bb.783:
	s_mov_b32 s12, 0x3bffffff
	v_cmp_lt_u32_e32 vcc, s12, v1
	s_mov_b64 s[12:13], 0
                                        ; implicit-def: $vgpr1
	s_and_saveexec_b64 s[14:15], vcc
	s_xor_b64 s[14:15], exec, s[14:15]
	s_cbranch_execz .LBB23_960
; %bb.784:
	v_bfe_u32 v1, v24, 20, 1
	s_mov_b32 s17, 0x487ffff
	v_add3_u32 v1, v24, v1, s17
	s_mov_b64 s[12:13], exec
	v_lshrrev_b32_e32 v1, 20, v1
	s_or_saveexec_b64 s[14:15], s[14:15]
                                        ; implicit-def: $sgpr17
	s_xor_b64 exec, exec, s[14:15]
	s_cbranch_execnz .LBB23_961
.LBB23_785:
	s_or_b64 exec, exec, s[14:15]
	v_mov_b32_e32 v4, s17
	s_and_saveexec_b64 s[14:15], s[12:13]
.LBB23_786:
	v_lshrrev_b32_e32 v4, 24, v24
	s_movk_i32 s12, 0x80
	v_and_or_b32 v4, v4, s12, v1
.LBB23_787:
	s_or_b64 exec, exec, s[14:15]
.LBB23_788:
	s_or_b64 exec, exec, s[10:11]
	global_store_byte v[2:3], v4, off
.LBB23_789:
	s_mov_b64 s[10:11], -1
.LBB23_790:
	s_mov_b64 s[12:13], 0
.LBB23_791:
	s_and_b64 vcc, exec, s[12:13]
	s_cbranch_vccz .LBB23_831
; %bb.792:
	v_mov_b32_e32 v1, 22
	v_cmp_gt_i16_sdwa s[12:13], s16, v1 src0_sel:BYTE_0 src1_sel:DWORD
	s_mov_b64 s[8:9], -1
	s_and_b64 vcc, exec, s[12:13]
	s_cbranch_vccz .LBB23_824
; %bb.793:
	v_mov_b32_e32 v1, 24
	v_cmp_lt_i16_sdwa s[10:11], s16, v1 src0_sel:BYTE_0 src1_sel:DWORD
	s_and_b64 vcc, exec, s[10:11]
	s_cbranch_vccnz .LBB23_813
; %bb.794:
	v_cmp_gt_i16_sdwa s[10:11], s16, v1 src0_sel:BYTE_0 src1_sel:DWORD
	s_and_b64 vcc, exec, s[10:11]
	s_cbranch_vccz .LBB23_802
; %bb.795:
	v_and_b32_e32 v1, 0x7fffffff, v24
	s_mov_b32 s8, 0x47800000
	v_cmp_gt_u32_e32 vcc, s8, v1
	v_mov_b32_e32 v4, 0x80
	s_and_saveexec_b64 s[8:9], vcc
	s_cbranch_execz .LBB23_801
; %bb.796:
	s_mov_b32 s10, 0x37ffffff
	v_cmp_lt_u32_e32 vcc, s10, v1
	s_mov_b64 s[10:11], 0
                                        ; implicit-def: $vgpr1
	s_and_saveexec_b64 s[12:13], vcc
	s_xor_b64 s[12:13], exec, s[12:13]
	s_cbranch_execz .LBB23_964
; %bb.797:
	v_bfe_u32 v1, v24, 21, 1
	s_mov_b32 s14, 0x88fffff
	v_add3_u32 v1, v24, v1, s14
	s_mov_b64 s[10:11], exec
	v_lshrrev_b32_e32 v1, 21, v1
	s_or_saveexec_b64 s[12:13], s[12:13]
                                        ; implicit-def: $sgpr14
	s_xor_b64 exec, exec, s[12:13]
	s_cbranch_execnz .LBB23_965
.LBB23_798:
	s_or_b64 exec, exec, s[12:13]
	v_mov_b32_e32 v4, s14
	s_and_saveexec_b64 s[12:13], s[10:11]
.LBB23_799:
	v_lshrrev_b32_e32 v4, 24, v24
	s_movk_i32 s10, 0x80
	v_and_or_b32 v4, v4, s10, v1
.LBB23_800:
	s_or_b64 exec, exec, s[12:13]
.LBB23_801:
	s_or_b64 exec, exec, s[8:9]
	s_mov_b64 s[8:9], 0
	global_store_byte v[2:3], v4, off
.LBB23_802:
	s_and_b64 vcc, exec, s[8:9]
	s_cbranch_vccz .LBB23_812
; %bb.803:
	v_and_b32_e32 v4, 0x7fffffff, v24
	s_mov_b32 s8, 0x43f00000
	v_cmp_gt_u32_e32 vcc, s8, v4
                                        ; implicit-def: $vgpr1
	s_and_saveexec_b64 s[8:9], vcc
	s_xor_b64 s[8:9], exec, s[8:9]
	s_cbranch_execz .LBB23_809
; %bb.804:
	s_mov_b32 s10, 0x3c7fffff
	v_cmp_lt_u32_e32 vcc, s10, v4
                                        ; implicit-def: $vgpr1
	s_and_saveexec_b64 s[10:11], vcc
	s_xor_b64 s[10:11], exec, s[10:11]
; %bb.805:
	v_bfe_u32 v1, v24, 20, 1
	s_mov_b32 s12, 0x407ffff
	v_add3_u32 v1, v24, v1, s12
	v_lshrrev_b32_e32 v4, 20, v1
	v_and_b32_e32 v1, 0xff00000, v1
	s_mov_b32 s12, 0x7f00000
	v_mov_b32_e32 v5, 0x7e
	v_cmp_ne_u32_e32 vcc, s12, v1
	v_cndmask_b32_e32 v1, v5, v4, vcc
; %bb.806:
	s_andn2_saveexec_b64 s[10:11], s[10:11]
; %bb.807:
	s_mov_b32 s12, 0x46800000
	v_add_f32_e64 v1, |v24|, s12
; %bb.808:
	s_or_b64 exec, exec, s[10:11]
                                        ; implicit-def: $vgpr4
.LBB23_809:
	s_andn2_saveexec_b64 s[8:9], s[8:9]
; %bb.810:
	s_mov_b32 s10, 0x7f800000
	v_mov_b32_e32 v1, 0x7e
	v_mov_b32_e32 v5, 0x7f
	v_cmp_lt_u32_e32 vcc, s10, v4
	v_cndmask_b32_e32 v1, v1, v5, vcc
; %bb.811:
	s_or_b64 exec, exec, s[8:9]
	v_lshrrev_b32_e32 v4, 24, v24
	s_movk_i32 s8, 0x80
	v_and_or_b32 v1, v4, s8, v1
	global_store_byte v[2:3], v1, off
.LBB23_812:
	s_mov_b64 s[8:9], 0
.LBB23_813:
	s_andn2_b64 vcc, exec, s[8:9]
	s_cbranch_vccnz .LBB23_823
; %bb.814:
	v_and_b32_e32 v4, 0x7fffffff, v24
	s_mov_b32 s8, 0x47800000
	v_cmp_gt_u32_e32 vcc, s8, v4
                                        ; implicit-def: $vgpr1
	s_and_saveexec_b64 s[8:9], vcc
	s_xor_b64 s[8:9], exec, s[8:9]
	s_cbranch_execz .LBB23_820
; %bb.815:
	s_mov_b32 s10, 0x387fffff
	v_cmp_lt_u32_e32 vcc, s10, v4
                                        ; implicit-def: $vgpr1
	s_and_saveexec_b64 s[10:11], vcc
	s_xor_b64 s[10:11], exec, s[10:11]
; %bb.816:
	v_bfe_u32 v1, v24, 21, 1
	s_mov_b32 s12, 0x80fffff
	v_add3_u32 v1, v24, v1, s12
	v_lshrrev_b32_e32 v1, 21, v1
; %bb.817:
	s_andn2_saveexec_b64 s[10:11], s[10:11]
; %bb.818:
	s_mov_b32 s12, 0x43000000
	v_add_f32_e64 v1, |v24|, s12
; %bb.819:
	s_or_b64 exec, exec, s[10:11]
                                        ; implicit-def: $vgpr4
.LBB23_820:
	s_andn2_saveexec_b64 s[8:9], s[8:9]
; %bb.821:
	s_mov_b32 s10, 0x7f800000
	v_mov_b32_e32 v1, 0x7c
	v_mov_b32_e32 v5, 0x7f
	v_cmp_lt_u32_e32 vcc, s10, v4
	v_cndmask_b32_e32 v1, v1, v5, vcc
; %bb.822:
	s_or_b64 exec, exec, s[8:9]
	v_lshrrev_b32_e32 v4, 24, v24
	s_movk_i32 s8, 0x80
	v_and_or_b32 v1, v4, s8, v1
	global_store_byte v[2:3], v1, off
.LBB23_823:
	s_mov_b64 s[8:9], 0
	s_mov_b64 s[10:11], -1
.LBB23_824:
	s_andn2_b64 vcc, exec, s[8:9]
	s_mov_b64 s[8:9], 0
	s_cbranch_vccnz .LBB23_831
; %bb.825:
	v_mov_b32_e32 v1, 14
	v_cmp_gt_i16_sdwa s[8:9], s16, v1 src0_sel:BYTE_0 src1_sel:DWORD
	s_mov_b64 s[12:13], -1
	s_and_b64 vcc, exec, s[8:9]
	s_cbranch_vccz .LBB23_829
; %bb.826:
	v_mov_b32_e32 v1, 15
	v_cmp_eq_u16_sdwa s[8:9], s16, v1 src0_sel:BYTE_0 src1_sel:DWORD
	s_mov_b64 s[4:5], -1
	s_and_b64 vcc, exec, s[8:9]
	s_cbranch_vccz .LBB23_828
; %bb.827:
	v_bfe_u32 v1, v24, 16, 1
	s_movk_i32 s4, 0x7fff
	v_add3_u32 v1, v24, v1, s4
	v_lshrrev_b32_e32 v1, 16, v1
	v_mov_b32_e32 v4, 0x7fc0
	v_cmp_o_f32_e32 vcc, v24, v24
	v_cndmask_b32_e32 v1, v4, v1, vcc
	global_store_short v[2:3], v1, off
	s_mov_b64 s[4:5], 0
	s_mov_b64 s[10:11], -1
.LBB23_828:
	s_mov_b64 s[12:13], 0
.LBB23_829:
	s_mov_b64 s[8:9], 0
	s_and_b64 vcc, exec, s[12:13]
	s_cbranch_vccz .LBB23_831
; %bb.830:
	v_mov_b32_e32 v1, 11
	v_cmp_ne_u16_sdwa s[4:5], s16, v1 src0_sel:BYTE_0 src1_sel:DWORD
	s_mov_b64 s[8:9], -1
.LBB23_831:
	s_and_b64 vcc, exec, s[4:5]
	s_cbranch_vccnz .LBB23_963
; %bb.832:
	s_andn2_b64 vcc, exec, s[8:9]
	s_cbranch_vccnz .LBB23_834
.LBB23_833:
	v_cmp_neq_f32_e32 vcc, 0, v24
	v_cndmask_b32_e64 v1, 0, 1, vcc
	s_mov_b64 s[10:11], -1
	global_store_byte v[2:3], v1, off
.LBB23_834:
	s_branch .LBB23_755
.LBB23_835:
	v_mov_b32_e32 v1, 5
	v_cmp_lt_i16_sdwa s[8:9], s16, v1 src0_sel:BYTE_0 src1_sel:DWORD
	s_mov_b64 s[4:5], -1
	s_and_b64 vcc, exec, s[8:9]
	s_cbranch_vccnz .LBB23_856
; %bb.836:
	v_mov_b32_e32 v1, 8
	v_cmp_lt_i16_sdwa s[8:9], s16, v1 src0_sel:BYTE_0 src1_sel:DWORD
	s_and_b64 vcc, exec, s[8:9]
	s_cbranch_vccnz .LBB23_846
; %bb.837:
	v_mov_b32_e32 v1, 9
	v_cmp_lt_i16_sdwa s[8:9], s16, v1 src0_sel:BYTE_0 src1_sel:DWORD
	s_and_b64 vcc, exec, s[8:9]
	s_cbranch_vccnz .LBB23_843
; %bb.838:
	v_cmp_gt_i16_sdwa s[8:9], s16, v1 src0_sel:BYTE_0 src1_sel:DWORD
	s_and_b64 vcc, exec, s[8:9]
	s_cbranch_vccz .LBB23_840
; %bb.839:
	v_mov_b32_e32 v6, 0
	v_cvt_f64_f32_e32 v[4:5], v24
	v_mov_b32_e32 v7, v6
	global_store_dwordx4 v[2:3], v[4:7], off
	s_mov_b64 s[4:5], 0
.LBB23_840:
	s_andn2_b64 vcc, exec, s[4:5]
	s_cbranch_vccnz .LBB23_842
; %bb.841:
	v_mov_b32_e32 v25, 0
	global_store_dwordx2 v[2:3], v[24:25], off
.LBB23_842:
	s_mov_b64 s[4:5], 0
.LBB23_843:
	s_andn2_b64 vcc, exec, s[4:5]
	s_cbranch_vccnz .LBB23_845
; %bb.844:
	v_cvt_f16_f32_e32 v1, v24
	global_store_dword v[2:3], v1, off
.LBB23_845:
	s_mov_b64 s[4:5], 0
.LBB23_846:
	s_andn2_b64 vcc, exec, s[4:5]
	s_cbranch_vccnz .LBB23_855
; %bb.847:
	v_mov_b32_e32 v1, 6
	v_cmp_lt_i16_sdwa s[8:9], s16, v1 src0_sel:BYTE_0 src1_sel:DWORD
	s_mov_b64 s[4:5], -1
	s_and_b64 vcc, exec, s[8:9]
	s_cbranch_vccnz .LBB23_853
; %bb.848:
	v_cmp_gt_i16_sdwa s[8:9], s16, v1 src0_sel:BYTE_0 src1_sel:DWORD
	s_and_b64 vcc, exec, s[8:9]
	s_cbranch_vccz .LBB23_850
; %bb.849:
	v_cvt_f64_f32_e32 v[4:5], v24
	global_store_dwordx2 v[2:3], v[4:5], off
	s_mov_b64 s[4:5], 0
.LBB23_850:
	s_andn2_b64 vcc, exec, s[4:5]
	s_cbranch_vccnz .LBB23_852
; %bb.851:
	global_store_dword v[2:3], v24, off
.LBB23_852:
	s_mov_b64 s[4:5], 0
.LBB23_853:
	s_andn2_b64 vcc, exec, s[4:5]
	s_cbranch_vccnz .LBB23_855
; %bb.854:
	v_cvt_f16_f32_e32 v1, v24
	global_store_short v[2:3], v1, off
.LBB23_855:
	s_mov_b64 s[4:5], 0
.LBB23_856:
	s_andn2_b64 vcc, exec, s[4:5]
	s_cbranch_vccnz .LBB23_872
; %bb.857:
	v_mov_b32_e32 v1, 2
	v_cmp_lt_i16_sdwa s[8:9], s16, v1 src0_sel:BYTE_0 src1_sel:DWORD
	s_mov_b64 s[4:5], -1
	s_and_b64 vcc, exec, s[8:9]
	s_cbranch_vccnz .LBB23_867
; %bb.858:
	v_mov_b32_e32 v1, 3
	v_cmp_lt_i16_sdwa s[8:9], s16, v1 src0_sel:BYTE_0 src1_sel:DWORD
	s_and_b64 vcc, exec, s[8:9]
	s_cbranch_vccnz .LBB23_864
; %bb.859:
	v_cmp_gt_i16_sdwa s[8:9], s16, v1 src0_sel:BYTE_0 src1_sel:DWORD
	s_and_b64 vcc, exec, s[8:9]
	s_cbranch_vccz .LBB23_861
; %bb.860:
	v_trunc_f32_e32 v1, v24
	s_mov_b32 s4, 0x2f800000
	v_mul_f32_e64 v4, |v1|, s4
	v_floor_f32_e32 v4, v4
	s_mov_b32 s4, 0xcf800000
	v_cvt_u32_f32_e32 v5, v4
	v_fma_f32 v4, v4, s4, |v1|
	v_cvt_u32_f32_e32 v4, v4
	v_ashrrev_i32_e32 v1, 31, v1
	v_xor_b32_e32 v5, v5, v1
	s_mov_b64 s[4:5], 0
	v_xor_b32_e32 v4, v4, v1
	v_sub_co_u32_e32 v4, vcc, v4, v1
	v_subb_co_u32_e32 v5, vcc, v5, v1, vcc
	global_store_dwordx2 v[2:3], v[4:5], off
.LBB23_861:
	s_andn2_b64 vcc, exec, s[4:5]
	s_cbranch_vccnz .LBB23_863
; %bb.862:
	v_cvt_i32_f32_e32 v1, v24
	global_store_dword v[2:3], v1, off
.LBB23_863:
	s_mov_b64 s[4:5], 0
.LBB23_864:
	s_andn2_b64 vcc, exec, s[4:5]
	s_cbranch_vccnz .LBB23_866
; %bb.865:
	v_cvt_i32_f32_e32 v1, v24
	global_store_short v[2:3], v1, off
.LBB23_866:
	s_mov_b64 s[4:5], 0
.LBB23_867:
	s_andn2_b64 vcc, exec, s[4:5]
	s_cbranch_vccnz .LBB23_872
; %bb.868:
	v_mov_b32_e32 v1, 0
	v_cmp_gt_i16_sdwa s[8:9], s16, v1 src0_sel:BYTE_0 src1_sel:DWORD
	s_mov_b64 s[4:5], -1
	s_and_b64 vcc, exec, s[8:9]
	s_cbranch_vccz .LBB23_870
; %bb.869:
	v_cvt_i32_f32_e32 v1, v24
	s_mov_b64 s[4:5], 0
	global_store_byte v[2:3], v1, off
.LBB23_870:
	s_andn2_b64 vcc, exec, s[4:5]
	s_cbranch_vccnz .LBB23_872
; %bb.871:
	v_trunc_f32_e32 v1, v24
	s_mov_b32 s4, 0x2f800000
	v_mul_f32_e64 v4, |v1|, s4
	v_floor_f32_e32 v4, v4
	s_mov_b32 s4, 0xcf800000
	v_fma_f32 v4, v4, s4, |v1|
	v_cvt_u32_f32_e32 v4, v4
	v_ashrrev_i32_e32 v1, 31, v1
	v_xor_b32_e32 v4, v4, v1
	v_sub_u32_e32 v1, v4, v1
	global_store_byte v[2:3], v1, off
.LBB23_872:
.LBB23_873:
	v_mov_b32_e32 v1, s37
	v_add_co_u32_e32 v2, vcc, s36, v34
	v_addc_co_u32_e32 v3, vcc, 0, v1, vcc
	v_mov_b32_e32 v1, 11
	v_cmp_lt_i16_sdwa s[4:5], s16, v1 src0_sel:BYTE_0 src1_sel:DWORD
	s_and_b64 vcc, exec, s[4:5]
	s_cbranch_vccnz .LBB23_880
; %bb.874:
	v_mov_b32_e32 v1, 25
	v_cmp_gt_i16_sdwa s[4:5], s16, v1 src0_sel:BYTE_0 src1_sel:DWORD
	s_mov_b64 s[12:13], -1
	s_mov_b64 s[8:9], 0
	s_and_b64 vcc, exec, s[4:5]
	s_mov_b64 s[10:11], 0
	s_mov_b64 s[4:5], 0
	s_cbranch_vccz .LBB23_994
; %bb.875:
	v_mov_b32_e32 v1, 28
	v_cmp_gt_i16_sdwa s[4:5], s16, v1 src0_sel:BYTE_0 src1_sel:DWORD
	s_and_b64 vcc, exec, s[4:5]
	s_cbranch_vccz .LBB23_959
; %bb.876:
	v_mov_b32_e32 v1, 43
	v_cmp_gt_i16_sdwa s[4:5], s16, v1 src0_sel:BYTE_0 src1_sel:DWORD
	s_and_b64 vcc, exec, s[4:5]
	;; [unrolled: 5-line block ×3, first 2 shown]
	s_cbranch_vccz .LBB23_966
; %bb.878:
	v_mov_b32_e32 v1, 46
	v_cmp_eq_u16_sdwa s[10:11], s16, v1 src0_sel:BYTE_0 src1_sel:DWORD
	s_mov_b64 s[4:5], -1
	s_mov_b64 s[12:13], 0
	s_and_b64 vcc, exec, s[10:11]
	s_mov_b64 s[10:11], 0
	s_cbranch_vccz .LBB23_967
; %bb.879:
	v_bfe_u32 v1, v22, 16, 1
	s_movk_i32 s4, 0x7fff
	v_add3_u32 v1, v22, v1, s4
	v_lshrrev_b32_e32 v1, 16, v1
	v_mov_b32_e32 v4, 0x7fc0
	v_cmp_o_f32_e32 vcc, v22, v22
	v_cndmask_b32_e32 v1, v4, v1, vcc
	global_store_dword v[2:3], v1, off
	s_mov_b64 s[4:5], 0
	s_mov_b64 s[10:11], -1
	s_branch .LBB23_967
.LBB23_880:
	s_mov_b64 s[10:11], 0
	s_cbranch_execnz .LBB23_1038
.LBB23_881:
	s_andn2_b64 vcc, exec, s[10:11]
	s_cbranch_vccnz .LBB23_1076
.LBB23_882:
	v_mov_b32_e32 v1, s37
	v_add_co_u32_e32 v2, vcc, s36, v32
	v_addc_co_u32_e32 v3, vcc, 0, v1, vcc
	v_mov_b32_e32 v1, 0xff
	v_and_b32_e32 v4, s16, v1
	v_cmp_gt_i16_e32 vcc, 11, v4
	s_cbranch_vccnz .LBB23_958
; %bb.883:
	v_cmp_lt_i16_e32 vcc, 25, v4
	s_mov_b64 s[10:11], -1
	s_mov_b64 s[8:9], 0
	s_mov_b64 s[4:5], 0
	s_cbranch_vccz .LBB23_916
; %bb.884:
	v_cmp_lt_i16_e32 vcc, 28, v4
	s_cbranch_vccz .LBB23_900
; %bb.885:
	v_cmp_lt_i16_e32 vcc, 43, v4
	s_cbranch_vccz .LBB23_896
; %bb.886:
	v_cmp_lt_i16_e32 vcc, 45, v4
	s_cbranch_vccz .LBB23_890
; %bb.887:
	v_cmp_eq_u16_e32 vcc, 46, v4
	s_mov_b64 s[4:5], -1
	s_cbranch_vccz .LBB23_889
; %bb.888:
	v_bfe_u32 v1, v0, 16, 1
	s_movk_i32 s4, 0x7fff
	v_add3_u32 v1, v0, v1, s4
	v_lshrrev_b32_e32 v1, 16, v1
	v_mov_b32_e32 v5, 0x7fc0
	v_cmp_o_f32_e32 vcc, v0, v0
	v_cndmask_b32_e32 v1, v5, v1, vcc
	global_store_dword v[2:3], v1, off
	s_mov_b64 s[4:5], 0
.LBB23_889:
	s_mov_b64 s[10:11], 0
.LBB23_890:
	s_and_b64 vcc, exec, s[10:11]
	s_cbranch_vccz .LBB23_895
; %bb.891:
	v_cmp_eq_u16_e32 vcc, 44, v4
	s_mov_b64 s[4:5], -1
	s_cbranch_vccz .LBB23_895
; %bb.892:
	v_bfe_u32 v1, v0, 23, 8
	s_movk_i32 s4, 0xff
	v_cmp_ne_u32_e32 vcc, s4, v1
	v_mov_b32_e32 v5, 0xff
	s_and_saveexec_b64 s[10:11], vcc
; %bb.893:
	s_mov_b32 s4, 0x3fffff
	v_and_b32_e32 v6, 0x400000, v0
	v_and_or_b32 v1, v0, s4, v1
	v_cmp_ne_u32_e32 vcc, 0, v6
	v_cmp_ne_u32_e64 s[4:5], 0, v1
	s_and_b64 s[4:5], vcc, s[4:5]
	v_lshrrev_b32_e32 v5, 23, v0
	v_cndmask_b32_e64 v1, 0, 1, s[4:5]
	v_add_u32_e32 v5, v5, v1
; %bb.894:
	s_or_b64 exec, exec, s[10:11]
	s_mov_b64 s[4:5], 0
	global_store_byte v[2:3], v5, off
.LBB23_895:
	s_mov_b64 s[10:11], 0
.LBB23_896:
	s_and_b64 vcc, exec, s[10:11]
	s_cbranch_vccz .LBB23_899
; %bb.897:
	v_cmp_eq_u16_e32 vcc, 29, v4
	s_mov_b64 s[4:5], -1
	s_cbranch_vccz .LBB23_899
; %bb.898:
	v_trunc_f32_e32 v1, v0
	v_mul_f32_e32 v5, 0x2f800000, v1
	v_floor_f32_e32 v5, v5
	v_fmac_f32_e32 v1, 0xcf800000, v5
	v_cvt_u32_f32_e32 v7, v5
	v_cvt_u32_f32_e32 v6, v1
	s_mov_b64 s[4:5], 0
	global_store_dwordx2 v[2:3], v[6:7], off
.LBB23_899:
	s_mov_b64 s[10:11], 0
.LBB23_900:
	s_and_b64 vcc, exec, s[10:11]
	s_cbranch_vccz .LBB23_915
; %bb.901:
	v_cmp_gt_i16_e32 vcc, 27, v4
	s_mov_b64 s[10:11], -1
	s_cbranch_vccnz .LBB23_907
; %bb.902:
	v_cvt_u32_f32_e32 v1, v0
	v_cmp_lt_i16_e32 vcc, 27, v4
	s_cbranch_vccz .LBB23_904
; %bb.903:
	global_store_dword v[2:3], v1, off
	s_mov_b64 s[10:11], 0
.LBB23_904:
	s_andn2_b64 vcc, exec, s[10:11]
	s_cbranch_vccnz .LBB23_906
; %bb.905:
	global_store_short v[2:3], v1, off
.LBB23_906:
	s_mov_b64 s[10:11], 0
.LBB23_907:
	s_andn2_b64 vcc, exec, s[10:11]
	s_cbranch_vccnz .LBB23_915
; %bb.908:
	v_and_b32_e32 v1, 0x7fffffff, v0
	s_mov_b32 s10, 0x43800000
	v_cmp_gt_u32_e32 vcc, s10, v1
	v_mov_b32_e32 v5, 0x80
	s_and_saveexec_b64 s[10:11], vcc
	s_cbranch_execz .LBB23_914
; %bb.909:
	s_mov_b32 s12, 0x3bffffff
	v_cmp_lt_u32_e32 vcc, s12, v1
	s_mov_b64 s[12:13], 0
                                        ; implicit-def: $vgpr1
	s_and_saveexec_b64 s[14:15], vcc
	s_xor_b64 s[14:15], exec, s[14:15]
	s_cbranch_execz .LBB23_1126
; %bb.910:
	v_bfe_u32 v1, v0, 20, 1
	s_mov_b32 s16, 0x487ffff
	v_add3_u32 v1, v0, v1, s16
	s_mov_b64 s[12:13], exec
	v_lshrrev_b32_e32 v1, 20, v1
	s_or_saveexec_b64 s[14:15], s[14:15]
                                        ; implicit-def: $sgpr16
	s_xor_b64 exec, exec, s[14:15]
	s_cbranch_execnz .LBB23_1127
.LBB23_911:
	s_or_b64 exec, exec, s[14:15]
	v_mov_b32_e32 v5, s16
	s_and_saveexec_b64 s[14:15], s[12:13]
.LBB23_912:
	v_lshrrev_b32_e32 v5, 24, v0
	s_movk_i32 s12, 0x80
	v_and_or_b32 v5, v5, s12, v1
.LBB23_913:
	s_or_b64 exec, exec, s[14:15]
.LBB23_914:
	s_or_b64 exec, exec, s[10:11]
	global_store_byte v[2:3], v5, off
.LBB23_915:
	s_mov_b64 s[10:11], 0
.LBB23_916:
	s_and_b64 vcc, exec, s[10:11]
	s_cbranch_vccz .LBB23_956
; %bb.917:
	v_cmp_lt_i16_e32 vcc, 22, v4
	s_mov_b64 s[8:9], -1
	s_cbranch_vccz .LBB23_949
; %bb.918:
	v_cmp_gt_i16_e32 vcc, 24, v4
	s_cbranch_vccnz .LBB23_938
; %bb.919:
	v_cmp_lt_i16_e32 vcc, 24, v4
	s_cbranch_vccz .LBB23_927
; %bb.920:
	v_and_b32_e32 v1, 0x7fffffff, v0
	s_mov_b32 s8, 0x47800000
	v_cmp_gt_u32_e32 vcc, s8, v1
	v_mov_b32_e32 v5, 0x80
	s_and_saveexec_b64 s[8:9], vcc
	s_cbranch_execz .LBB23_926
; %bb.921:
	s_mov_b32 s10, 0x37ffffff
	v_cmp_lt_u32_e32 vcc, s10, v1
	s_mov_b64 s[10:11], 0
                                        ; implicit-def: $vgpr1
	s_and_saveexec_b64 s[12:13], vcc
	s_xor_b64 s[12:13], exec, s[12:13]
	s_cbranch_execz .LBB23_1135
; %bb.922:
	v_bfe_u32 v1, v0, 21, 1
	s_mov_b32 s14, 0x88fffff
	v_add3_u32 v1, v0, v1, s14
	s_mov_b64 s[10:11], exec
	v_lshrrev_b32_e32 v1, 21, v1
	s_or_saveexec_b64 s[12:13], s[12:13]
                                        ; implicit-def: $sgpr14
	s_xor_b64 exec, exec, s[12:13]
	s_cbranch_execnz .LBB23_1136
.LBB23_923:
	s_or_b64 exec, exec, s[12:13]
	v_mov_b32_e32 v5, s14
	s_and_saveexec_b64 s[12:13], s[10:11]
.LBB23_924:
	v_lshrrev_b32_e32 v5, 24, v0
	s_movk_i32 s10, 0x80
	v_and_or_b32 v5, v5, s10, v1
.LBB23_925:
	s_or_b64 exec, exec, s[12:13]
.LBB23_926:
	s_or_b64 exec, exec, s[8:9]
	s_mov_b64 s[8:9], 0
	global_store_byte v[2:3], v5, off
.LBB23_927:
	s_and_b64 vcc, exec, s[8:9]
	s_cbranch_vccz .LBB23_937
; %bb.928:
	v_and_b32_e32 v5, 0x7fffffff, v0
	s_mov_b32 s8, 0x43f00000
	v_cmp_gt_u32_e32 vcc, s8, v5
                                        ; implicit-def: $vgpr1
	s_and_saveexec_b64 s[8:9], vcc
	s_xor_b64 s[8:9], exec, s[8:9]
	s_cbranch_execz .LBB23_934
; %bb.929:
	s_mov_b32 s10, 0x3c7fffff
	v_cmp_lt_u32_e32 vcc, s10, v5
                                        ; implicit-def: $vgpr1
	s_and_saveexec_b64 s[10:11], vcc
	s_xor_b64 s[10:11], exec, s[10:11]
; %bb.930:
	v_bfe_u32 v1, v0, 20, 1
	s_mov_b32 s12, 0x407ffff
	v_add3_u32 v1, v0, v1, s12
	v_lshrrev_b32_e32 v5, 20, v1
	v_and_b32_e32 v1, 0xff00000, v1
	s_mov_b32 s12, 0x7f00000
	v_mov_b32_e32 v6, 0x7e
	v_cmp_ne_u32_e32 vcc, s12, v1
	v_cndmask_b32_e32 v1, v6, v5, vcc
; %bb.931:
	s_andn2_saveexec_b64 s[10:11], s[10:11]
; %bb.932:
	s_mov_b32 s12, 0x46800000
	v_add_f32_e64 v1, |v0|, s12
; %bb.933:
	s_or_b64 exec, exec, s[10:11]
                                        ; implicit-def: $vgpr5
.LBB23_934:
	s_andn2_saveexec_b64 s[8:9], s[8:9]
; %bb.935:
	s_mov_b32 s10, 0x7f800000
	v_mov_b32_e32 v1, 0x7e
	v_mov_b32_e32 v6, 0x7f
	v_cmp_lt_u32_e32 vcc, s10, v5
	v_cndmask_b32_e32 v1, v1, v6, vcc
; %bb.936:
	s_or_b64 exec, exec, s[8:9]
	v_lshrrev_b32_e32 v5, 24, v0
	s_movk_i32 s8, 0x80
	v_and_or_b32 v1, v5, s8, v1
	global_store_byte v[2:3], v1, off
.LBB23_937:
	s_mov_b64 s[8:9], 0
.LBB23_938:
	s_andn2_b64 vcc, exec, s[8:9]
	s_cbranch_vccnz .LBB23_948
; %bb.939:
	v_and_b32_e32 v5, 0x7fffffff, v0
	s_mov_b32 s8, 0x47800000
	v_cmp_gt_u32_e32 vcc, s8, v5
                                        ; implicit-def: $vgpr1
	s_and_saveexec_b64 s[8:9], vcc
	s_xor_b64 s[8:9], exec, s[8:9]
	s_cbranch_execz .LBB23_945
; %bb.940:
	s_mov_b32 s10, 0x387fffff
	v_cmp_lt_u32_e32 vcc, s10, v5
                                        ; implicit-def: $vgpr1
	s_and_saveexec_b64 s[10:11], vcc
	s_xor_b64 s[10:11], exec, s[10:11]
; %bb.941:
	v_bfe_u32 v1, v0, 21, 1
	s_mov_b32 s12, 0x80fffff
	v_add3_u32 v1, v0, v1, s12
	v_lshrrev_b32_e32 v1, 21, v1
; %bb.942:
	s_andn2_saveexec_b64 s[10:11], s[10:11]
; %bb.943:
	s_mov_b32 s12, 0x43000000
	v_add_f32_e64 v1, |v0|, s12
; %bb.944:
	s_or_b64 exec, exec, s[10:11]
                                        ; implicit-def: $vgpr5
.LBB23_945:
	s_andn2_saveexec_b64 s[8:9], s[8:9]
; %bb.946:
	s_mov_b32 s10, 0x7f800000
	v_mov_b32_e32 v1, 0x7c
	v_mov_b32_e32 v6, 0x7f
	v_cmp_lt_u32_e32 vcc, s10, v5
	v_cndmask_b32_e32 v1, v1, v6, vcc
; %bb.947:
	s_or_b64 exec, exec, s[8:9]
	v_lshrrev_b32_e32 v5, 24, v0
	s_movk_i32 s8, 0x80
	v_and_or_b32 v1, v5, s8, v1
	global_store_byte v[2:3], v1, off
.LBB23_948:
	s_mov_b64 s[8:9], 0
.LBB23_949:
	s_andn2_b64 vcc, exec, s[8:9]
	s_mov_b64 s[8:9], 0
	s_cbranch_vccnz .LBB23_956
; %bb.950:
	v_cmp_lt_i16_e32 vcc, 14, v4
	s_mov_b64 s[10:11], -1
	s_cbranch_vccz .LBB23_954
; %bb.951:
	v_cmp_eq_u16_e32 vcc, 15, v4
	s_mov_b64 s[4:5], -1
	s_cbranch_vccz .LBB23_953
; %bb.952:
	v_bfe_u32 v1, v0, 16, 1
	s_movk_i32 s4, 0x7fff
	v_add3_u32 v1, v0, v1, s4
	v_lshrrev_b32_e32 v1, 16, v1
	v_mov_b32_e32 v5, 0x7fc0
	v_cmp_o_f32_e32 vcc, v0, v0
	v_cndmask_b32_e32 v1, v5, v1, vcc
	global_store_short v[2:3], v1, off
	s_mov_b64 s[4:5], 0
.LBB23_953:
	s_mov_b64 s[10:11], 0
.LBB23_954:
	s_and_b64 vcc, exec, s[10:11]
	s_cbranch_vccz .LBB23_956
; %bb.955:
	v_cmp_ne_u16_e64 s[4:5], 11, v4
	s_mov_b64 s[8:9], -1
.LBB23_956:
	s_and_b64 vcc, exec, s[4:5]
	s_cbranch_vccnz .LBB23_1130
.LBB23_957:
	s_mov_b64 s[4:5], 0
	s_branch .LBB23_1077
.LBB23_958:
	s_mov_b64 s[8:9], 0
	s_mov_b64 s[4:5], -1
	s_branch .LBB23_1077
.LBB23_959:
	s_mov_b64 s[4:5], 0
	s_branch .LBB23_977
.LBB23_960:
	s_or_saveexec_b64 s[14:15], s[14:15]
                                        ; implicit-def: $sgpr17
	s_xor_b64 exec, exec, s[14:15]
	s_cbranch_execz .LBB23_785
.LBB23_961:
	s_mov_b32 s17, 0x46000000
	v_add_f32_e64 v1, |v24|, s17
	v_and_b32_e32 v1, 0xff, v1
	v_cmp_ne_u32_e32 vcc, 0, v1
	s_andn2_b64 s[12:13], s[12:13], exec
	s_and_b64 s[18:19], vcc, exec
	s_mov_b32 s17, 0
	s_or_b64 s[12:13], s[12:13], s[18:19]
	s_or_b64 exec, exec, s[14:15]
	v_mov_b32_e32 v4, s17
	s_and_saveexec_b64 s[14:15], s[12:13]
	s_cbranch_execnz .LBB23_786
	s_branch .LBB23_787
.LBB23_962:
	s_mov_b64 s[4:5], 0
	s_branch .LBB23_973
.LBB23_963:
	s_trap 2
	s_or_b64 s[6:7], s[6:7], exec
	s_cbranch_execz .LBB23_833
	s_branch .LBB23_834
.LBB23_964:
	s_or_saveexec_b64 s[12:13], s[12:13]
                                        ; implicit-def: $sgpr14
	s_xor_b64 exec, exec, s[12:13]
	s_cbranch_execz .LBB23_798
.LBB23_965:
	s_mov_b32 s14, 0x42800000
	v_add_f32_e64 v1, |v24|, s14
	v_and_b32_e32 v1, 0xff, v1
	v_cmp_ne_u32_e32 vcc, 0, v1
	s_andn2_b64 s[10:11], s[10:11], exec
	s_and_b64 s[18:19], vcc, exec
	s_mov_b32 s14, 0
	s_or_b64 s[10:11], s[10:11], s[18:19]
	s_or_b64 exec, exec, s[12:13]
	v_mov_b32_e32 v4, s14
	s_and_saveexec_b64 s[12:13], s[10:11]
	s_cbranch_execnz .LBB23_799
	s_branch .LBB23_800
.LBB23_966:
	s_mov_b64 s[4:5], 0
.LBB23_967:
	s_and_b64 vcc, exec, s[12:13]
	s_cbranch_vccz .LBB23_972
; %bb.968:
	v_mov_b32_e32 v1, 44
	v_cmp_eq_u16_sdwa s[12:13], s16, v1 src0_sel:BYTE_0 src1_sel:DWORD
	s_mov_b64 s[4:5], -1
	s_and_b64 vcc, exec, s[12:13]
	s_cbranch_vccz .LBB23_972
; %bb.969:
	v_bfe_u32 v1, v22, 23, 8
	s_movk_i32 s4, 0xff
	v_cmp_ne_u32_e32 vcc, s4, v1
	v_mov_b32_e32 v4, 0xff
	s_and_saveexec_b64 s[10:11], vcc
; %bb.970:
	s_mov_b32 s4, 0x3fffff
	v_and_b32_e32 v5, 0x400000, v22
	v_and_or_b32 v1, v22, s4, v1
	v_cmp_ne_u32_e32 vcc, 0, v5
	v_cmp_ne_u32_e64 s[4:5], 0, v1
	s_and_b64 s[4:5], vcc, s[4:5]
	v_lshrrev_b32_e32 v4, 23, v22
	v_cndmask_b32_e64 v1, 0, 1, s[4:5]
	v_add_u32_e32 v4, v4, v1
; %bb.971:
	s_or_b64 exec, exec, s[10:11]
	s_mov_b64 s[4:5], 0
	s_mov_b64 s[10:11], -1
	global_store_byte v[2:3], v4, off
.LBB23_972:
	s_mov_b64 s[12:13], 0
.LBB23_973:
	s_and_b64 vcc, exec, s[12:13]
	s_cbranch_vccz .LBB23_976
; %bb.974:
	v_mov_b32_e32 v1, 29
	v_cmp_eq_u16_sdwa s[12:13], s16, v1 src0_sel:BYTE_0 src1_sel:DWORD
	s_mov_b64 s[4:5], -1
	s_and_b64 vcc, exec, s[12:13]
	s_cbranch_vccz .LBB23_976
; %bb.975:
	v_trunc_f32_e32 v1, v22
	v_mul_f32_e32 v4, 0x2f800000, v1
	v_floor_f32_e32 v4, v4
	v_fmac_f32_e32 v1, 0xcf800000, v4
	v_cvt_u32_f32_e32 v5, v4
	v_cvt_u32_f32_e32 v4, v1
	s_mov_b64 s[4:5], 0
	s_mov_b64 s[10:11], -1
	s_mov_b64 s[12:13], 0
	global_store_dwordx2 v[2:3], v[4:5], off
	s_branch .LBB23_977
.LBB23_976:
	s_mov_b64 s[12:13], 0
.LBB23_977:
	s_and_b64 vcc, exec, s[12:13]
	s_cbranch_vccz .LBB23_993
; %bb.978:
	v_mov_b32_e32 v1, 27
	v_cmp_lt_i16_sdwa s[12:13], s16, v1 src0_sel:BYTE_0 src1_sel:DWORD
	s_mov_b64 s[10:11], -1
	s_and_b64 vcc, exec, s[12:13]
	s_cbranch_vccnz .LBB23_984
; %bb.979:
	v_cmp_gt_i16_sdwa s[12:13], s16, v1 src0_sel:BYTE_0 src1_sel:DWORD
	v_cvt_u32_f32_e32 v1, v22
	s_and_b64 vcc, exec, s[12:13]
	s_cbranch_vccz .LBB23_981
; %bb.980:
	s_mov_b64 s[10:11], 0
	global_store_dword v[2:3], v1, off
.LBB23_981:
	s_andn2_b64 vcc, exec, s[10:11]
	s_cbranch_vccnz .LBB23_983
; %bb.982:
	global_store_short v[2:3], v1, off
.LBB23_983:
	s_mov_b64 s[10:11], 0
.LBB23_984:
	s_andn2_b64 vcc, exec, s[10:11]
	s_cbranch_vccnz .LBB23_992
; %bb.985:
	v_and_b32_e32 v1, 0x7fffffff, v22
	s_mov_b32 s10, 0x43800000
	v_cmp_gt_u32_e32 vcc, s10, v1
	v_mov_b32_e32 v4, 0x80
	s_and_saveexec_b64 s[10:11], vcc
	s_cbranch_execz .LBB23_991
; %bb.986:
	s_mov_b32 s12, 0x3bffffff
	v_cmp_lt_u32_e32 vcc, s12, v1
	s_mov_b64 s[12:13], 0
                                        ; implicit-def: $vgpr1
	s_and_saveexec_b64 s[14:15], vcc
	s_xor_b64 s[14:15], exec, s[14:15]
	s_cbranch_execz .LBB23_1121
; %bb.987:
	v_bfe_u32 v1, v22, 20, 1
	s_mov_b32 s17, 0x487ffff
	v_add3_u32 v1, v22, v1, s17
	s_mov_b64 s[12:13], exec
	v_lshrrev_b32_e32 v1, 20, v1
	s_or_saveexec_b64 s[14:15], s[14:15]
                                        ; implicit-def: $sgpr17
	s_xor_b64 exec, exec, s[14:15]
	s_cbranch_execnz .LBB23_1122
.LBB23_988:
	s_or_b64 exec, exec, s[14:15]
	v_mov_b32_e32 v4, s17
	s_and_saveexec_b64 s[14:15], s[12:13]
.LBB23_989:
	v_lshrrev_b32_e32 v4, 24, v22
	s_movk_i32 s12, 0x80
	v_and_or_b32 v4, v4, s12, v1
.LBB23_990:
	s_or_b64 exec, exec, s[14:15]
.LBB23_991:
	s_or_b64 exec, exec, s[10:11]
	global_store_byte v[2:3], v4, off
.LBB23_992:
	s_mov_b64 s[10:11], -1
.LBB23_993:
	s_mov_b64 s[12:13], 0
.LBB23_994:
	s_and_b64 vcc, exec, s[12:13]
	s_cbranch_vccz .LBB23_1034
; %bb.995:
	v_mov_b32_e32 v1, 22
	v_cmp_gt_i16_sdwa s[12:13], s16, v1 src0_sel:BYTE_0 src1_sel:DWORD
	s_mov_b64 s[8:9], -1
	s_and_b64 vcc, exec, s[12:13]
	s_cbranch_vccz .LBB23_1027
; %bb.996:
	v_mov_b32_e32 v1, 24
	v_cmp_lt_i16_sdwa s[10:11], s16, v1 src0_sel:BYTE_0 src1_sel:DWORD
	s_and_b64 vcc, exec, s[10:11]
	s_cbranch_vccnz .LBB23_1016
; %bb.997:
	v_cmp_gt_i16_sdwa s[10:11], s16, v1 src0_sel:BYTE_0 src1_sel:DWORD
	s_and_b64 vcc, exec, s[10:11]
	s_cbranch_vccz .LBB23_1005
; %bb.998:
	v_and_b32_e32 v1, 0x7fffffff, v22
	s_mov_b32 s8, 0x47800000
	v_cmp_gt_u32_e32 vcc, s8, v1
	v_mov_b32_e32 v4, 0x80
	s_and_saveexec_b64 s[8:9], vcc
	s_cbranch_execz .LBB23_1004
; %bb.999:
	s_mov_b32 s10, 0x37ffffff
	v_cmp_lt_u32_e32 vcc, s10, v1
	s_mov_b64 s[10:11], 0
                                        ; implicit-def: $vgpr1
	s_and_saveexec_b64 s[12:13], vcc
	s_xor_b64 s[12:13], exec, s[12:13]
	s_cbranch_execz .LBB23_1128
; %bb.1000:
	v_bfe_u32 v1, v22, 21, 1
	s_mov_b32 s14, 0x88fffff
	v_add3_u32 v1, v22, v1, s14
	s_mov_b64 s[10:11], exec
	v_lshrrev_b32_e32 v1, 21, v1
	s_or_saveexec_b64 s[12:13], s[12:13]
                                        ; implicit-def: $sgpr14
	s_xor_b64 exec, exec, s[12:13]
	s_cbranch_execnz .LBB23_1129
.LBB23_1001:
	s_or_b64 exec, exec, s[12:13]
	v_mov_b32_e32 v4, s14
	s_and_saveexec_b64 s[12:13], s[10:11]
.LBB23_1002:
	v_lshrrev_b32_e32 v4, 24, v22
	s_movk_i32 s10, 0x80
	v_and_or_b32 v4, v4, s10, v1
.LBB23_1003:
	s_or_b64 exec, exec, s[12:13]
.LBB23_1004:
	s_or_b64 exec, exec, s[8:9]
	s_mov_b64 s[8:9], 0
	global_store_byte v[2:3], v4, off
.LBB23_1005:
	s_and_b64 vcc, exec, s[8:9]
	s_cbranch_vccz .LBB23_1015
; %bb.1006:
	v_and_b32_e32 v4, 0x7fffffff, v22
	s_mov_b32 s8, 0x43f00000
	v_cmp_gt_u32_e32 vcc, s8, v4
                                        ; implicit-def: $vgpr1
	s_and_saveexec_b64 s[8:9], vcc
	s_xor_b64 s[8:9], exec, s[8:9]
	s_cbranch_execz .LBB23_1012
; %bb.1007:
	s_mov_b32 s10, 0x3c7fffff
	v_cmp_lt_u32_e32 vcc, s10, v4
                                        ; implicit-def: $vgpr1
	s_and_saveexec_b64 s[10:11], vcc
	s_xor_b64 s[10:11], exec, s[10:11]
; %bb.1008:
	v_bfe_u32 v1, v22, 20, 1
	s_mov_b32 s12, 0x407ffff
	v_add3_u32 v1, v22, v1, s12
	v_lshrrev_b32_e32 v4, 20, v1
	v_and_b32_e32 v1, 0xff00000, v1
	s_mov_b32 s12, 0x7f00000
	v_mov_b32_e32 v5, 0x7e
	v_cmp_ne_u32_e32 vcc, s12, v1
	v_cndmask_b32_e32 v1, v5, v4, vcc
; %bb.1009:
	s_andn2_saveexec_b64 s[10:11], s[10:11]
; %bb.1010:
	s_mov_b32 s12, 0x46800000
	v_add_f32_e64 v1, |v22|, s12
; %bb.1011:
	s_or_b64 exec, exec, s[10:11]
                                        ; implicit-def: $vgpr4
.LBB23_1012:
	s_andn2_saveexec_b64 s[8:9], s[8:9]
; %bb.1013:
	s_mov_b32 s10, 0x7f800000
	v_mov_b32_e32 v1, 0x7e
	v_mov_b32_e32 v5, 0x7f
	v_cmp_lt_u32_e32 vcc, s10, v4
	v_cndmask_b32_e32 v1, v1, v5, vcc
; %bb.1014:
	s_or_b64 exec, exec, s[8:9]
	v_lshrrev_b32_e32 v4, 24, v22
	s_movk_i32 s8, 0x80
	v_and_or_b32 v1, v4, s8, v1
	global_store_byte v[2:3], v1, off
.LBB23_1015:
	s_mov_b64 s[8:9], 0
.LBB23_1016:
	s_andn2_b64 vcc, exec, s[8:9]
	s_cbranch_vccnz .LBB23_1026
; %bb.1017:
	v_and_b32_e32 v4, 0x7fffffff, v22
	s_mov_b32 s8, 0x47800000
	v_cmp_gt_u32_e32 vcc, s8, v4
                                        ; implicit-def: $vgpr1
	s_and_saveexec_b64 s[8:9], vcc
	s_xor_b64 s[8:9], exec, s[8:9]
	s_cbranch_execz .LBB23_1023
; %bb.1018:
	s_mov_b32 s10, 0x387fffff
	v_cmp_lt_u32_e32 vcc, s10, v4
                                        ; implicit-def: $vgpr1
	s_and_saveexec_b64 s[10:11], vcc
	s_xor_b64 s[10:11], exec, s[10:11]
; %bb.1019:
	v_bfe_u32 v1, v22, 21, 1
	s_mov_b32 s12, 0x80fffff
	v_add3_u32 v1, v22, v1, s12
	v_lshrrev_b32_e32 v1, 21, v1
; %bb.1020:
	s_andn2_saveexec_b64 s[10:11], s[10:11]
; %bb.1021:
	s_mov_b32 s12, 0x43000000
	v_add_f32_e64 v1, |v22|, s12
; %bb.1022:
	s_or_b64 exec, exec, s[10:11]
                                        ; implicit-def: $vgpr4
.LBB23_1023:
	s_andn2_saveexec_b64 s[8:9], s[8:9]
; %bb.1024:
	s_mov_b32 s10, 0x7f800000
	v_mov_b32_e32 v1, 0x7c
	v_mov_b32_e32 v5, 0x7f
	v_cmp_lt_u32_e32 vcc, s10, v4
	v_cndmask_b32_e32 v1, v1, v5, vcc
; %bb.1025:
	s_or_b64 exec, exec, s[8:9]
	v_lshrrev_b32_e32 v4, 24, v22
	s_movk_i32 s8, 0x80
	v_and_or_b32 v1, v4, s8, v1
	global_store_byte v[2:3], v1, off
.LBB23_1026:
	s_mov_b64 s[8:9], 0
	s_mov_b64 s[10:11], -1
.LBB23_1027:
	s_andn2_b64 vcc, exec, s[8:9]
	s_mov_b64 s[8:9], 0
	s_cbranch_vccnz .LBB23_1034
; %bb.1028:
	v_mov_b32_e32 v1, 14
	v_cmp_gt_i16_sdwa s[8:9], s16, v1 src0_sel:BYTE_0 src1_sel:DWORD
	s_mov_b64 s[12:13], -1
	s_and_b64 vcc, exec, s[8:9]
	s_cbranch_vccz .LBB23_1032
; %bb.1029:
	v_mov_b32_e32 v1, 15
	v_cmp_eq_u16_sdwa s[8:9], s16, v1 src0_sel:BYTE_0 src1_sel:DWORD
	s_mov_b64 s[4:5], -1
	s_and_b64 vcc, exec, s[8:9]
	s_cbranch_vccz .LBB23_1031
; %bb.1030:
	v_bfe_u32 v1, v22, 16, 1
	s_movk_i32 s4, 0x7fff
	v_add3_u32 v1, v22, v1, s4
	v_lshrrev_b32_e32 v1, 16, v1
	v_mov_b32_e32 v4, 0x7fc0
	v_cmp_o_f32_e32 vcc, v22, v22
	v_cndmask_b32_e32 v1, v4, v1, vcc
	global_store_short v[2:3], v1, off
	s_mov_b64 s[4:5], 0
	s_mov_b64 s[10:11], -1
.LBB23_1031:
	s_mov_b64 s[12:13], 0
.LBB23_1032:
	s_mov_b64 s[8:9], 0
	s_and_b64 vcc, exec, s[12:13]
	s_cbranch_vccz .LBB23_1034
; %bb.1033:
	v_mov_b32_e32 v1, 11
	v_cmp_ne_u16_sdwa s[4:5], s16, v1 src0_sel:BYTE_0 src1_sel:DWORD
	s_mov_b64 s[8:9], -1
.LBB23_1034:
	s_and_b64 vcc, exec, s[4:5]
	s_cbranch_vccnz .LBB23_1123
; %bb.1035:
	s_andn2_b64 vcc, exec, s[8:9]
	s_cbranch_vccnz .LBB23_1037
.LBB23_1036:
	v_cmp_neq_f32_e32 vcc, 0, v22
	v_cndmask_b32_e64 v1, 0, 1, vcc
	s_mov_b64 s[10:11], -1
	global_store_byte v[2:3], v1, off
.LBB23_1037:
	s_branch .LBB23_881
.LBB23_1038:
	v_mov_b32_e32 v1, 5
	v_cmp_lt_i16_sdwa s[8:9], s16, v1 src0_sel:BYTE_0 src1_sel:DWORD
	s_mov_b64 s[4:5], -1
	s_and_b64 vcc, exec, s[8:9]
	s_cbranch_vccnz .LBB23_1059
; %bb.1039:
	v_mov_b32_e32 v1, 8
	v_cmp_lt_i16_sdwa s[8:9], s16, v1 src0_sel:BYTE_0 src1_sel:DWORD
	s_and_b64 vcc, exec, s[8:9]
	s_cbranch_vccnz .LBB23_1049
; %bb.1040:
	v_mov_b32_e32 v1, 9
	v_cmp_lt_i16_sdwa s[8:9], s16, v1 src0_sel:BYTE_0 src1_sel:DWORD
	s_and_b64 vcc, exec, s[8:9]
	s_cbranch_vccnz .LBB23_1046
; %bb.1041:
	v_cmp_gt_i16_sdwa s[8:9], s16, v1 src0_sel:BYTE_0 src1_sel:DWORD
	s_and_b64 vcc, exec, s[8:9]
	s_cbranch_vccz .LBB23_1043
; %bb.1042:
	v_mov_b32_e32 v6, 0
	v_cvt_f64_f32_e32 v[4:5], v22
	v_mov_b32_e32 v7, v6
	global_store_dwordx4 v[2:3], v[4:7], off
	s_mov_b64 s[4:5], 0
.LBB23_1043:
	s_andn2_b64 vcc, exec, s[4:5]
	s_cbranch_vccnz .LBB23_1045
; %bb.1044:
	v_mov_b32_e32 v23, 0
	global_store_dwordx2 v[2:3], v[22:23], off
.LBB23_1045:
	s_mov_b64 s[4:5], 0
.LBB23_1046:
	s_andn2_b64 vcc, exec, s[4:5]
	s_cbranch_vccnz .LBB23_1048
; %bb.1047:
	v_cvt_f16_f32_e32 v1, v22
	global_store_dword v[2:3], v1, off
.LBB23_1048:
	s_mov_b64 s[4:5], 0
.LBB23_1049:
	s_andn2_b64 vcc, exec, s[4:5]
	s_cbranch_vccnz .LBB23_1058
; %bb.1050:
	v_mov_b32_e32 v1, 6
	v_cmp_lt_i16_sdwa s[8:9], s16, v1 src0_sel:BYTE_0 src1_sel:DWORD
	s_mov_b64 s[4:5], -1
	s_and_b64 vcc, exec, s[8:9]
	s_cbranch_vccnz .LBB23_1056
; %bb.1051:
	v_cmp_gt_i16_sdwa s[8:9], s16, v1 src0_sel:BYTE_0 src1_sel:DWORD
	s_and_b64 vcc, exec, s[8:9]
	s_cbranch_vccz .LBB23_1053
; %bb.1052:
	v_cvt_f64_f32_e32 v[4:5], v22
	global_store_dwordx2 v[2:3], v[4:5], off
	s_mov_b64 s[4:5], 0
.LBB23_1053:
	s_andn2_b64 vcc, exec, s[4:5]
	s_cbranch_vccnz .LBB23_1055
; %bb.1054:
	global_store_dword v[2:3], v22, off
.LBB23_1055:
	s_mov_b64 s[4:5], 0
.LBB23_1056:
	s_andn2_b64 vcc, exec, s[4:5]
	s_cbranch_vccnz .LBB23_1058
; %bb.1057:
	v_cvt_f16_f32_e32 v1, v22
	global_store_short v[2:3], v1, off
.LBB23_1058:
	s_mov_b64 s[4:5], 0
.LBB23_1059:
	s_andn2_b64 vcc, exec, s[4:5]
	s_cbranch_vccnz .LBB23_1075
; %bb.1060:
	v_mov_b32_e32 v1, 2
	v_cmp_lt_i16_sdwa s[8:9], s16, v1 src0_sel:BYTE_0 src1_sel:DWORD
	s_mov_b64 s[4:5], -1
	s_and_b64 vcc, exec, s[8:9]
	s_cbranch_vccnz .LBB23_1070
; %bb.1061:
	v_mov_b32_e32 v1, 3
	v_cmp_lt_i16_sdwa s[8:9], s16, v1 src0_sel:BYTE_0 src1_sel:DWORD
	s_and_b64 vcc, exec, s[8:9]
	s_cbranch_vccnz .LBB23_1067
; %bb.1062:
	v_cmp_gt_i16_sdwa s[8:9], s16, v1 src0_sel:BYTE_0 src1_sel:DWORD
	s_and_b64 vcc, exec, s[8:9]
	s_cbranch_vccz .LBB23_1064
; %bb.1063:
	v_trunc_f32_e32 v1, v22
	s_mov_b32 s4, 0x2f800000
	v_mul_f32_e64 v4, |v1|, s4
	v_floor_f32_e32 v4, v4
	s_mov_b32 s4, 0xcf800000
	v_cvt_u32_f32_e32 v5, v4
	v_fma_f32 v4, v4, s4, |v1|
	v_cvt_u32_f32_e32 v4, v4
	v_ashrrev_i32_e32 v1, 31, v1
	v_xor_b32_e32 v5, v5, v1
	s_mov_b64 s[4:5], 0
	v_xor_b32_e32 v4, v4, v1
	v_sub_co_u32_e32 v4, vcc, v4, v1
	v_subb_co_u32_e32 v5, vcc, v5, v1, vcc
	global_store_dwordx2 v[2:3], v[4:5], off
.LBB23_1064:
	s_andn2_b64 vcc, exec, s[4:5]
	s_cbranch_vccnz .LBB23_1066
; %bb.1065:
	v_cvt_i32_f32_e32 v1, v22
	global_store_dword v[2:3], v1, off
.LBB23_1066:
	s_mov_b64 s[4:5], 0
.LBB23_1067:
	s_andn2_b64 vcc, exec, s[4:5]
	s_cbranch_vccnz .LBB23_1069
; %bb.1068:
	v_cvt_i32_f32_e32 v1, v22
	global_store_short v[2:3], v1, off
.LBB23_1069:
	s_mov_b64 s[4:5], 0
.LBB23_1070:
	s_andn2_b64 vcc, exec, s[4:5]
	s_cbranch_vccnz .LBB23_1075
; %bb.1071:
	v_mov_b32_e32 v1, 0
	v_cmp_gt_i16_sdwa s[8:9], s16, v1 src0_sel:BYTE_0 src1_sel:DWORD
	s_mov_b64 s[4:5], -1
	s_and_b64 vcc, exec, s[8:9]
	s_cbranch_vccz .LBB23_1073
; %bb.1072:
	v_cvt_i32_f32_e32 v1, v22
	s_mov_b64 s[4:5], 0
	global_store_byte v[2:3], v1, off
.LBB23_1073:
	s_andn2_b64 vcc, exec, s[4:5]
	s_cbranch_vccnz .LBB23_1075
; %bb.1074:
	v_trunc_f32_e32 v1, v22
	s_mov_b32 s4, 0x2f800000
	v_mul_f32_e64 v4, |v1|, s4
	v_floor_f32_e32 v4, v4
	s_mov_b32 s4, 0xcf800000
	v_fma_f32 v4, v4, s4, |v1|
	v_cvt_u32_f32_e32 v4, v4
	v_ashrrev_i32_e32 v1, 31, v1
	v_xor_b32_e32 v4, v4, v1
	v_sub_u32_e32 v1, v4, v1
	global_store_byte v[2:3], v1, off
.LBB23_1075:
	s_branch .LBB23_882
.LBB23_1076:
	s_mov_b64 s[4:5], 0
	s_mov_b64 s[8:9], 0
                                        ; implicit-def: $vgpr4
                                        ; implicit-def: $vgpr2_vgpr3
.LBB23_1077:
	s_and_b64 s[48:49], s[8:9], exec
	s_andn2_b64 s[8:9], s[40:41], exec
	s_and_b64 s[6:7], s[6:7], exec
	s_and_b64 s[4:5], s[4:5], exec
	s_or_b64 s[40:41], s[8:9], s[6:7]
.LBB23_1078:
	s_or_b64 exec, exec, s[42:43]
	s_and_saveexec_b64 s[6:7], s[40:41]
	s_cbranch_execz .LBB23_1081
; %bb.1079:
	; divergent unreachable
	s_or_b64 exec, exec, s[6:7]
	s_and_saveexec_b64 s[6:7], s[48:49]
	s_xor_b64 s[6:7], exec, s[6:7]
	s_cbranch_execnz .LBB23_1082
.LBB23_1080:
	s_or_b64 exec, exec, s[6:7]
	s_and_saveexec_b64 s[6:7], s[4:5]
	s_cbranch_execnz .LBB23_1083
	s_branch .LBB23_1120
.LBB23_1081:
	s_or_b64 exec, exec, s[6:7]
	s_and_saveexec_b64 s[6:7], s[48:49]
	s_xor_b64 s[6:7], exec, s[6:7]
	s_cbranch_execz .LBB23_1080
.LBB23_1082:
	v_cmp_neq_f32_e32 vcc, 0, v0
	v_cndmask_b32_e64 v1, 0, 1, vcc
	global_store_byte v[2:3], v1, off
	s_or_b64 exec, exec, s[6:7]
	s_and_saveexec_b64 s[6:7], s[4:5]
	s_cbranch_execz .LBB23_1120
.LBB23_1083:
	v_cmp_gt_i16_e32 vcc, 5, v4
	s_mov_b64 s[4:5], -1
	s_cbranch_vccnz .LBB23_1104
; %bb.1084:
	v_cmp_gt_i16_e32 vcc, 8, v4
	s_cbranch_vccnz .LBB23_1094
; %bb.1085:
	v_cmp_gt_i16_e32 vcc, 9, v4
	s_cbranch_vccnz .LBB23_1091
; %bb.1086:
	v_cmp_lt_i16_e32 vcc, 9, v4
	s_cbranch_vccz .LBB23_1088
; %bb.1087:
	v_mov_b32_e32 v8, 0
	v_cvt_f64_f32_e32 v[6:7], v0
	v_mov_b32_e32 v9, v8
	global_store_dwordx4 v[2:3], v[6:9], off
	s_mov_b64 s[4:5], 0
.LBB23_1088:
	s_andn2_b64 vcc, exec, s[4:5]
	s_cbranch_vccnz .LBB23_1090
; %bb.1089:
	v_mov_b32_e32 v1, 0
	global_store_dwordx2 v[2:3], v[0:1], off
.LBB23_1090:
	s_mov_b64 s[4:5], 0
.LBB23_1091:
	s_andn2_b64 vcc, exec, s[4:5]
	s_cbranch_vccnz .LBB23_1093
; %bb.1092:
	v_cvt_f16_f32_e32 v1, v0
	global_store_dword v[2:3], v1, off
.LBB23_1093:
	s_mov_b64 s[4:5], 0
.LBB23_1094:
	s_andn2_b64 vcc, exec, s[4:5]
	s_cbranch_vccnz .LBB23_1103
; %bb.1095:
	v_cmp_gt_i16_e32 vcc, 6, v4
	s_mov_b64 s[4:5], -1
	s_cbranch_vccnz .LBB23_1101
; %bb.1096:
	v_cmp_lt_i16_e32 vcc, 6, v4
	s_cbranch_vccz .LBB23_1098
; %bb.1097:
	v_cvt_f64_f32_e32 v[6:7], v0
	global_store_dwordx2 v[2:3], v[6:7], off
	s_mov_b64 s[4:5], 0
.LBB23_1098:
	s_andn2_b64 vcc, exec, s[4:5]
	s_cbranch_vccnz .LBB23_1100
; %bb.1099:
	global_store_dword v[2:3], v0, off
.LBB23_1100:
	s_mov_b64 s[4:5], 0
.LBB23_1101:
	s_andn2_b64 vcc, exec, s[4:5]
	s_cbranch_vccnz .LBB23_1103
; %bb.1102:
	v_cvt_f16_f32_e32 v1, v0
	global_store_short v[2:3], v1, off
.LBB23_1103:
	s_mov_b64 s[4:5], 0
.LBB23_1104:
	s_andn2_b64 vcc, exec, s[4:5]
	s_cbranch_vccnz .LBB23_1120
; %bb.1105:
	v_cmp_gt_i16_e32 vcc, 2, v4
	s_mov_b64 s[4:5], -1
	s_cbranch_vccnz .LBB23_1115
; %bb.1106:
	v_cmp_gt_i16_e32 vcc, 3, v4
	s_cbranch_vccnz .LBB23_1112
; %bb.1107:
	v_cmp_lt_i16_e32 vcc, 3, v4
	s_cbranch_vccz .LBB23_1109
; %bb.1108:
	v_trunc_f32_e32 v1, v0
	s_mov_b32 s4, 0x2f800000
	v_mul_f32_e64 v5, |v1|, s4
	v_floor_f32_e32 v5, v5
	s_mov_b32 s4, 0xcf800000
	v_cvt_u32_f32_e32 v6, v5
	v_fma_f32 v5, v5, s4, |v1|
	v_cvt_u32_f32_e32 v5, v5
	v_ashrrev_i32_e32 v1, 31, v1
	v_xor_b32_e32 v7, v6, v1
	s_mov_b64 s[4:5], 0
	v_xor_b32_e32 v5, v5, v1
	v_sub_co_u32_e32 v6, vcc, v5, v1
	v_subb_co_u32_e32 v7, vcc, v7, v1, vcc
	global_store_dwordx2 v[2:3], v[6:7], off
.LBB23_1109:
	s_andn2_b64 vcc, exec, s[4:5]
	s_cbranch_vccnz .LBB23_1111
; %bb.1110:
	v_cvt_i32_f32_e32 v1, v0
	global_store_dword v[2:3], v1, off
.LBB23_1111:
	s_mov_b64 s[4:5], 0
.LBB23_1112:
	s_andn2_b64 vcc, exec, s[4:5]
	s_cbranch_vccnz .LBB23_1114
; %bb.1113:
	v_cvt_i32_f32_e32 v1, v0
	global_store_short v[2:3], v1, off
.LBB23_1114:
	s_mov_b64 s[4:5], 0
.LBB23_1115:
	s_andn2_b64 vcc, exec, s[4:5]
	s_cbranch_vccnz .LBB23_1120
; %bb.1116:
	v_cmp_lt_i16_e32 vcc, 0, v4
	s_mov_b64 s[4:5], -1
	s_cbranch_vccz .LBB23_1118
; %bb.1117:
	v_cvt_i32_f32_e32 v1, v0
	s_mov_b64 s[4:5], 0
	global_store_byte v[2:3], v1, off
.LBB23_1118:
	s_andn2_b64 vcc, exec, s[4:5]
	s_cbranch_vccnz .LBB23_1120
; %bb.1119:
	v_trunc_f32_e32 v0, v0
	s_mov_b32 s4, 0x2f800000
	v_mul_f32_e64 v1, |v0|, s4
	v_floor_f32_e32 v1, v1
	s_mov_b32 s4, 0xcf800000
	v_fma_f32 v1, v1, s4, |v0|
	v_cvt_u32_f32_e32 v1, v1
	v_ashrrev_i32_e32 v0, 31, v0
	v_xor_b32_e32 v1, v1, v0
	v_sub_u32_e32 v0, v1, v0
	global_store_byte v[2:3], v0, off
	s_endpgm
.LBB23_1120:
	s_endpgm
.LBB23_1121:
	s_or_saveexec_b64 s[14:15], s[14:15]
                                        ; implicit-def: $sgpr17
	s_xor_b64 exec, exec, s[14:15]
	s_cbranch_execz .LBB23_988
.LBB23_1122:
	s_mov_b32 s17, 0x46000000
	v_add_f32_e64 v1, |v22|, s17
	v_and_b32_e32 v1, 0xff, v1
	v_cmp_ne_u32_e32 vcc, 0, v1
	s_andn2_b64 s[12:13], s[12:13], exec
	s_and_b64 s[18:19], vcc, exec
	s_mov_b32 s17, 0
	s_or_b64 s[12:13], s[12:13], s[18:19]
	s_or_b64 exec, exec, s[14:15]
	v_mov_b32_e32 v4, s17
	s_and_saveexec_b64 s[14:15], s[12:13]
	s_cbranch_execnz .LBB23_989
	s_branch .LBB23_990
.LBB23_1123:
	s_trap 2
	s_or_b64 s[6:7], s[6:7], exec
	s_cbranch_execz .LBB23_1036
	s_branch .LBB23_1037
.LBB23_1124:
	s_or_saveexec_b64 s[10:11], s[10:11]
                                        ; implicit-def: $sgpr12
	s_xor_b64 exec, exec, s[10:11]
	s_cbranch_execz .LBB23_341
.LBB23_1125:
	s_mov_b32 s12, 0x46000000
	v_add_f32_e64 v1, |v0|, s12
	v_and_b32_e32 v1, 0xff, v1
	v_cmp_ne_u32_e32 vcc, 0, v1
	s_andn2_b64 s[8:9], s[8:9], exec
	s_and_b64 s[14:15], vcc, exec
	s_mov_b32 s12, 0
	s_or_b64 s[8:9], s[8:9], s[14:15]
	s_or_b64 exec, exec, s[10:11]
	v_mov_b32_e32 v4, s12
	s_and_saveexec_b64 s[10:11], s[8:9]
	s_cbranch_execnz .LBB23_342
	s_branch .LBB23_343
.LBB23_1126:
	s_or_saveexec_b64 s[14:15], s[14:15]
                                        ; implicit-def: $sgpr16
	s_xor_b64 exec, exec, s[14:15]
	s_cbranch_execz .LBB23_911
.LBB23_1127:
	s_mov_b32 s16, 0x46000000
	v_add_f32_e64 v1, |v0|, s16
	v_and_b32_e32 v1, 0xff, v1
	v_cmp_ne_u32_e32 vcc, 0, v1
	s_andn2_b64 s[12:13], s[12:13], exec
	s_and_b64 s[18:19], vcc, exec
	s_mov_b32 s16, 0
	s_or_b64 s[12:13], s[12:13], s[18:19]
	s_or_b64 exec, exec, s[14:15]
	v_mov_b32_e32 v5, s16
	s_and_saveexec_b64 s[14:15], s[12:13]
	s_cbranch_execnz .LBB23_912
	s_branch .LBB23_913
.LBB23_1128:
	s_or_saveexec_b64 s[12:13], s[12:13]
                                        ; implicit-def: $sgpr14
	s_xor_b64 exec, exec, s[12:13]
	s_cbranch_execz .LBB23_1001
.LBB23_1129:
	s_mov_b32 s14, 0x42800000
	v_add_f32_e64 v1, |v22|, s14
	v_and_b32_e32 v1, 0xff, v1
	v_cmp_ne_u32_e32 vcc, 0, v1
	s_andn2_b64 s[10:11], s[10:11], exec
	s_and_b64 s[18:19], vcc, exec
	s_mov_b32 s14, 0
	s_or_b64 s[10:11], s[10:11], s[18:19]
	s_or_b64 exec, exec, s[12:13]
	v_mov_b32_e32 v4, s14
	s_and_saveexec_b64 s[12:13], s[10:11]
	s_cbranch_execnz .LBB23_1002
	s_branch .LBB23_1003
.LBB23_1130:
	s_mov_b64 s[8:9], 0
	s_or_b64 s[6:7], s[6:7], exec
	s_trap 2
	s_branch .LBB23_957
.LBB23_1131:
	s_or_saveexec_b64 s[10:11], s[10:11]
                                        ; implicit-def: $sgpr12
	s_xor_b64 exec, exec, s[10:11]
	s_cbranch_execz .LBB23_354
.LBB23_1132:
	s_mov_b32 s12, 0x42800000
	v_add_f32_e64 v1, |v0|, s12
	v_and_b32_e32 v1, 0xff, v1
	v_cmp_ne_u32_e32 vcc, 0, v1
	s_andn2_b64 s[8:9], s[8:9], exec
	s_and_b64 s[14:15], vcc, exec
	s_mov_b32 s12, 0
	s_or_b64 s[8:9], s[8:9], s[14:15]
	s_or_b64 exec, exec, s[10:11]
	v_mov_b32_e32 v4, s12
	s_and_saveexec_b64 s[10:11], s[8:9]
	s_cbranch_execnz .LBB23_355
	s_branch .LBB23_356
.LBB23_1133:
	s_or_saveexec_b64 s[10:11], s[10:11]
                                        ; implicit-def: $sgpr12
	s_xor_b64 exec, exec, s[10:11]
	s_cbranch_execz .LBB23_480
.LBB23_1134:
	s_mov_b32 s12, 0x46000000
	v_add_f32_e64 v1, |v0|, s12
	v_and_b32_e32 v1, 0xff, v1
	v_cmp_ne_u32_e32 vcc, 0, v1
	s_andn2_b64 s[8:9], s[8:9], exec
	s_and_b64 s[14:15], vcc, exec
	s_mov_b32 s12, 0
	s_or_b64 s[8:9], s[8:9], s[14:15]
	s_or_b64 exec, exec, s[10:11]
	v_mov_b32_e32 v5, s12
	s_and_saveexec_b64 s[10:11], s[8:9]
	s_cbranch_execnz .LBB23_481
	s_branch .LBB23_482
.LBB23_1135:
	s_or_saveexec_b64 s[12:13], s[12:13]
                                        ; implicit-def: $sgpr14
	s_xor_b64 exec, exec, s[12:13]
	s_cbranch_execz .LBB23_923
.LBB23_1136:
	s_mov_b32 s14, 0x42800000
	v_add_f32_e64 v1, |v0|, s14
	v_and_b32_e32 v1, 0xff, v1
	v_cmp_ne_u32_e32 vcc, 0, v1
	s_andn2_b64 s[10:11], s[10:11], exec
	s_and_b64 s[16:17], vcc, exec
	s_mov_b32 s14, 0
	s_or_b64 s[10:11], s[10:11], s[16:17]
	s_or_b64 exec, exec, s[12:13]
	v_mov_b32_e32 v5, s14
	s_and_saveexec_b64 s[12:13], s[10:11]
	s_cbranch_execnz .LBB23_924
	s_branch .LBB23_925
.LBB23_1137:
	s_or_saveexec_b64 s[12:13], s[12:13]
                                        ; implicit-def: $sgpr14
	s_xor_b64 exec, exec, s[12:13]
	s_cbranch_execz .LBB23_492
.LBB23_1138:
	s_mov_b32 s14, 0x42800000
	v_add_f32_e64 v1, |v0|, s14
	v_and_b32_e32 v1, 0xff, v1
	v_cmp_ne_u32_e32 vcc, 0, v1
	s_andn2_b64 s[10:11], s[10:11], exec
	s_and_b64 s[16:17], vcc, exec
	s_mov_b32 s14, 0
	s_or_b64 s[10:11], s[10:11], s[16:17]
	s_or_b64 exec, exec, s[12:13]
	v_mov_b32_e32 v5, s14
	s_and_saveexec_b64 s[12:13], s[10:11]
	s_cbranch_execnz .LBB23_493
	s_branch .LBB23_494
	.section	.rodata,"a",@progbits
	.p2align	6, 0x0
	.amdhsa_kernel _ZN2at6native32elementwise_kernel_manual_unrollILi128ELi4EZNS0_15gpu_kernel_implIZZZNS0_12_GLOBAL__N_119airy_ai_kernel_cudaERNS_18TensorIteratorBaseEENKUlvE_clEvENKUlvE0_clEvEUlfE_EEvS5_RKT_EUlibE0_EEviT1_
		.amdhsa_group_segment_fixed_size 0
		.amdhsa_private_segment_fixed_size 0
		.amdhsa_kernarg_size 360
		.amdhsa_user_sgpr_count 8
		.amdhsa_user_sgpr_private_segment_buffer 1
		.amdhsa_user_sgpr_dispatch_ptr 0
		.amdhsa_user_sgpr_queue_ptr 0
		.amdhsa_user_sgpr_kernarg_segment_ptr 1
		.amdhsa_user_sgpr_dispatch_id 0
		.amdhsa_user_sgpr_flat_scratch_init 1
		.amdhsa_user_sgpr_kernarg_preload_length 0
		.amdhsa_user_sgpr_kernarg_preload_offset 0
		.amdhsa_user_sgpr_private_segment_size 0
		.amdhsa_uses_dynamic_stack 0
		.amdhsa_system_sgpr_private_segment_wavefront_offset 0
		.amdhsa_system_sgpr_workgroup_id_x 1
		.amdhsa_system_sgpr_workgroup_id_y 0
		.amdhsa_system_sgpr_workgroup_id_z 0
		.amdhsa_system_sgpr_workgroup_info 0
		.amdhsa_system_vgpr_workitem_id 0
		.amdhsa_next_free_vgpr 40
		.amdhsa_next_free_sgpr 78
		.amdhsa_accum_offset 40
		.amdhsa_reserve_vcc 1
		.amdhsa_reserve_flat_scratch 1
		.amdhsa_float_round_mode_32 0
		.amdhsa_float_round_mode_16_64 0
		.amdhsa_float_denorm_mode_32 3
		.amdhsa_float_denorm_mode_16_64 3
		.amdhsa_dx10_clamp 1
		.amdhsa_ieee_mode 1
		.amdhsa_fp16_overflow 0
		.amdhsa_tg_split 0
		.amdhsa_exception_fp_ieee_invalid_op 0
		.amdhsa_exception_fp_denorm_src 0
		.amdhsa_exception_fp_ieee_div_zero 0
		.amdhsa_exception_fp_ieee_overflow 0
		.amdhsa_exception_fp_ieee_underflow 0
		.amdhsa_exception_fp_ieee_inexact 0
		.amdhsa_exception_int_div_zero 0
	.end_amdhsa_kernel
	.section	.text._ZN2at6native32elementwise_kernel_manual_unrollILi128ELi4EZNS0_15gpu_kernel_implIZZZNS0_12_GLOBAL__N_119airy_ai_kernel_cudaERNS_18TensorIteratorBaseEENKUlvE_clEvENKUlvE0_clEvEUlfE_EEvS5_RKT_EUlibE0_EEviT1_,"axG",@progbits,_ZN2at6native32elementwise_kernel_manual_unrollILi128ELi4EZNS0_15gpu_kernel_implIZZZNS0_12_GLOBAL__N_119airy_ai_kernel_cudaERNS_18TensorIteratorBaseEENKUlvE_clEvENKUlvE0_clEvEUlfE_EEvS5_RKT_EUlibE0_EEviT1_,comdat
.Lfunc_end23:
	.size	_ZN2at6native32elementwise_kernel_manual_unrollILi128ELi4EZNS0_15gpu_kernel_implIZZZNS0_12_GLOBAL__N_119airy_ai_kernel_cudaERNS_18TensorIteratorBaseEENKUlvE_clEvENKUlvE0_clEvEUlfE_EEvS5_RKT_EUlibE0_EEviT1_, .Lfunc_end23-_ZN2at6native32elementwise_kernel_manual_unrollILi128ELi4EZNS0_15gpu_kernel_implIZZZNS0_12_GLOBAL__N_119airy_ai_kernel_cudaERNS_18TensorIteratorBaseEENKUlvE_clEvENKUlvE0_clEvEUlfE_EEvS5_RKT_EUlibE0_EEviT1_
                                        ; -- End function
	.section	.AMDGPU.csdata,"",@progbits
; Kernel info:
; codeLenInByte = 24136
; NumSgprs: 84
; NumVgprs: 40
; NumAgprs: 0
; TotalNumVgprs: 40
; ScratchSize: 0
; MemoryBound: 0
; FloatMode: 240
; IeeeMode: 1
; LDSByteSize: 0 bytes/workgroup (compile time only)
; SGPRBlocks: 10
; VGPRBlocks: 4
; NumSGPRsForWavesPerEU: 84
; NumVGPRsForWavesPerEU: 40
; AccumOffset: 40
; Occupancy: 8
; WaveLimiterHint : 1
; COMPUTE_PGM_RSRC2:SCRATCH_EN: 0
; COMPUTE_PGM_RSRC2:USER_SGPR: 8
; COMPUTE_PGM_RSRC2:TRAP_HANDLER: 0
; COMPUTE_PGM_RSRC2:TGID_X_EN: 1
; COMPUTE_PGM_RSRC2:TGID_Y_EN: 0
; COMPUTE_PGM_RSRC2:TGID_Z_EN: 0
; COMPUTE_PGM_RSRC2:TIDIG_COMP_CNT: 0
; COMPUTE_PGM_RSRC3_GFX90A:ACCUM_OFFSET: 9
; COMPUTE_PGM_RSRC3_GFX90A:TG_SPLIT: 0
	.text
	.p2alignl 6, 3212836864
	.fill 256, 4, 3212836864
	.type	__hip_cuid_74c49b28dfba2ef0,@object ; @__hip_cuid_74c49b28dfba2ef0
	.section	.bss,"aw",@nobits
	.globl	__hip_cuid_74c49b28dfba2ef0
__hip_cuid_74c49b28dfba2ef0:
	.byte	0                               ; 0x0
	.size	__hip_cuid_74c49b28dfba2ef0, 1

	.ident	"AMD clang version 19.0.0git (https://github.com/RadeonOpenCompute/llvm-project roc-6.4.0 25133 c7fe45cf4b819c5991fe208aaa96edf142730f1d)"
	.section	".note.GNU-stack","",@progbits
	.addrsig
	.addrsig_sym __hip_cuid_74c49b28dfba2ef0
	.amdgpu_metadata
---
amdhsa.kernels:
  - .agpr_count:     0
    .args:
      - .offset:         0
        .size:           4
        .value_kind:     by_value
      - .offset:         4
        .size:           1
        .value_kind:     by_value
      - .offset:         8
        .size:           16
        .value_kind:     by_value
    .group_segment_fixed_size: 0
    .kernarg_segment_align: 8
    .kernarg_segment_size: 24
    .language:       OpenCL C
    .language_version:
      - 2
      - 0
    .max_flat_workgroup_size: 256
    .name:           _ZN2at6native29vectorized_elementwise_kernelILi16EZZZNS0_12_GLOBAL__N_119airy_ai_kernel_cudaERNS_18TensorIteratorBaseEENKUlvE_clEvENKUlvE_clEvEUldE_St5arrayIPcLm2EEEEviT0_T1_
    .private_segment_fixed_size: 8
    .sgpr_count:     51
    .sgpr_spill_count: 0
    .symbol:         _ZN2at6native29vectorized_elementwise_kernelILi16EZZZNS0_12_GLOBAL__N_119airy_ai_kernel_cudaERNS_18TensorIteratorBaseEENKUlvE_clEvENKUlvE_clEvEUldE_St5arrayIPcLm2EEEEviT0_T1_.kd
    .uniform_work_group_size: 1
    .uses_dynamic_stack: false
    .vgpr_count:     68
    .vgpr_spill_count: 0
    .wavefront_size: 64
  - .agpr_count:     0
    .args:
      - .offset:         0
        .size:           4
        .value_kind:     by_value
      - .offset:         4
        .size:           1
        .value_kind:     by_value
      - .offset:         8
        .size:           16
        .value_kind:     by_value
    .group_segment_fixed_size: 0
    .kernarg_segment_align: 8
    .kernarg_segment_size: 24
    .language:       OpenCL C
    .language_version:
      - 2
      - 0
    .max_flat_workgroup_size: 256
    .name:           _ZN2at6native29vectorized_elementwise_kernelILi8EZZZNS0_12_GLOBAL__N_119airy_ai_kernel_cudaERNS_18TensorIteratorBaseEENKUlvE_clEvENKUlvE_clEvEUldE_St5arrayIPcLm2EEEEviT0_T1_
    .private_segment_fixed_size: 8
    .sgpr_count:     51
    .sgpr_spill_count: 0
    .symbol:         _ZN2at6native29vectorized_elementwise_kernelILi8EZZZNS0_12_GLOBAL__N_119airy_ai_kernel_cudaERNS_18TensorIteratorBaseEENKUlvE_clEvENKUlvE_clEvEUldE_St5arrayIPcLm2EEEEviT0_T1_.kd
    .uniform_work_group_size: 1
    .uses_dynamic_stack: false
    .vgpr_count:     68
    .vgpr_spill_count: 0
    .wavefront_size: 64
  - .agpr_count:     0
    .args:
      - .offset:         0
        .size:           4
        .value_kind:     by_value
      - .offset:         4
        .size:           1
        .value_kind:     by_value
      - .offset:         8
        .size:           16
        .value_kind:     by_value
    .group_segment_fixed_size: 0
    .kernarg_segment_align: 8
    .kernarg_segment_size: 24
    .language:       OpenCL C
    .language_version:
      - 2
      - 0
    .max_flat_workgroup_size: 256
    .name:           _ZN2at6native29vectorized_elementwise_kernelILi4EZZZNS0_12_GLOBAL__N_119airy_ai_kernel_cudaERNS_18TensorIteratorBaseEENKUlvE_clEvENKUlvE_clEvEUldE_St5arrayIPcLm2EEEEviT0_T1_
    .private_segment_fixed_size: 8
    .sgpr_count:     51
    .sgpr_spill_count: 0
    .symbol:         _ZN2at6native29vectorized_elementwise_kernelILi4EZZZNS0_12_GLOBAL__N_119airy_ai_kernel_cudaERNS_18TensorIteratorBaseEENKUlvE_clEvENKUlvE_clEvEUldE_St5arrayIPcLm2EEEEviT0_T1_.kd
    .uniform_work_group_size: 1
    .uses_dynamic_stack: false
    .vgpr_count:     68
    .vgpr_spill_count: 0
    .wavefront_size: 64
  - .agpr_count:     0
    .args:
      - .offset:         0
        .size:           4
        .value_kind:     by_value
      - .offset:         4
        .size:           1
        .value_kind:     by_value
      - .offset:         8
        .size:           16
        .value_kind:     by_value
    .group_segment_fixed_size: 0
    .kernarg_segment_align: 8
    .kernarg_segment_size: 24
    .language:       OpenCL C
    .language_version:
      - 2
      - 0
    .max_flat_workgroup_size: 256
    .name:           _ZN2at6native29vectorized_elementwise_kernelILi2EZZZNS0_12_GLOBAL__N_119airy_ai_kernel_cudaERNS_18TensorIteratorBaseEENKUlvE_clEvENKUlvE_clEvEUldE_St5arrayIPcLm2EEEEviT0_T1_
    .private_segment_fixed_size: 8
    .sgpr_count:     54
    .sgpr_spill_count: 0
    .symbol:         _ZN2at6native29vectorized_elementwise_kernelILi2EZZZNS0_12_GLOBAL__N_119airy_ai_kernel_cudaERNS_18TensorIteratorBaseEENKUlvE_clEvENKUlvE_clEvEUldE_St5arrayIPcLm2EEEEviT0_T1_.kd
    .uniform_work_group_size: 1
    .uses_dynamic_stack: false
    .vgpr_count:     68
    .vgpr_spill_count: 0
    .wavefront_size: 64
  - .agpr_count:     0
    .args:
      - .offset:         0
        .size:           4
        .value_kind:     by_value
      - .offset:         4
        .size:           1
        .value_kind:     by_value
      - .offset:         8
        .size:           16
        .value_kind:     by_value
      - .offset:         24
        .size:           1
        .value_kind:     by_value
      - .offset:         25
        .size:           1
        .value_kind:     by_value
      - .offset:         26
        .size:           1
        .value_kind:     by_value
      - .offset:         27
        .size:           1
        .value_kind:     by_value
    .group_segment_fixed_size: 0
    .kernarg_segment_align: 8
    .kernarg_segment_size: 28
    .language:       OpenCL C
    .language_version:
      - 2
      - 0
    .max_flat_workgroup_size: 256
    .name:           _ZN2at6native27unrolled_elementwise_kernelIZZZNS0_12_GLOBAL__N_119airy_ai_kernel_cudaERNS_18TensorIteratorBaseEENKUlvE_clEvENKUlvE_clEvEUldE_St5arrayIPcLm2EELi4E23TrivialOffsetCalculatorILi1EjESC_NS0_6memory15LoadWithoutCastENSD_16StoreWithoutCastEEEviT_T0_T2_T3_T4_T5_
    .private_segment_fixed_size: 8
    .sgpr_count:     48
    .sgpr_spill_count: 0
    .symbol:         _ZN2at6native27unrolled_elementwise_kernelIZZZNS0_12_GLOBAL__N_119airy_ai_kernel_cudaERNS_18TensorIteratorBaseEENKUlvE_clEvENKUlvE_clEvEUldE_St5arrayIPcLm2EELi4E23TrivialOffsetCalculatorILi1EjESC_NS0_6memory15LoadWithoutCastENSD_16StoreWithoutCastEEEviT_T0_T2_T3_T4_T5_.kd
    .uniform_work_group_size: 1
    .uses_dynamic_stack: false
    .vgpr_count:     68
    .vgpr_spill_count: 0
    .wavefront_size: 64
  - .agpr_count:     0
    .args:
      - .offset:         0
        .size:           4
        .value_kind:     by_value
      - .offset:         8
        .size:           352
        .value_kind:     by_value
    .group_segment_fixed_size: 0
    .kernarg_segment_align: 8
    .kernarg_segment_size: 360
    .language:       OpenCL C
    .language_version:
      - 2
      - 0
    .max_flat_workgroup_size: 128
    .name:           _ZN2at6native32elementwise_kernel_manual_unrollILi128ELi4EZNS0_22gpu_kernel_impl_nocastIZZZNS0_12_GLOBAL__N_119airy_ai_kernel_cudaERNS_18TensorIteratorBaseEENKUlvE_clEvENKUlvE_clEvEUldE_EEvS5_RKT_EUlibE_EEviT1_
    .private_segment_fixed_size: 0
    .sgpr_count:     70
    .sgpr_spill_count: 0
    .symbol:         _ZN2at6native32elementwise_kernel_manual_unrollILi128ELi4EZNS0_22gpu_kernel_impl_nocastIZZZNS0_12_GLOBAL__N_119airy_ai_kernel_cudaERNS_18TensorIteratorBaseEENKUlvE_clEvENKUlvE_clEvEUldE_EEvS5_RKT_EUlibE_EEviT1_.kd
    .uniform_work_group_size: 1
    .uses_dynamic_stack: false
    .vgpr_count:     50
    .vgpr_spill_count: 0
    .wavefront_size: 64
  - .agpr_count:     0
    .args:
      - .offset:         0
        .size:           4
        .value_kind:     by_value
      - .offset:         8
        .size:           32
        .value_kind:     by_value
    .group_segment_fixed_size: 0
    .kernarg_segment_align: 8
    .kernarg_segment_size: 40
    .language:       OpenCL C
    .language_version:
      - 2
      - 0
    .max_flat_workgroup_size: 128
    .name:           _ZN2at6native32elementwise_kernel_manual_unrollILi128ELi4EZNS0_15gpu_kernel_implIZZZNS0_12_GLOBAL__N_119airy_ai_kernel_cudaERNS_18TensorIteratorBaseEENKUlvE_clEvENKUlvE_clEvEUldE_EEvS5_RKT_EUlibE_EEviT1_
    .private_segment_fixed_size: 8
    .sgpr_count:     68
    .sgpr_spill_count: 0
    .symbol:         _ZN2at6native32elementwise_kernel_manual_unrollILi128ELi4EZNS0_15gpu_kernel_implIZZZNS0_12_GLOBAL__N_119airy_ai_kernel_cudaERNS_18TensorIteratorBaseEENKUlvE_clEvENKUlvE_clEvEUldE_EEvS5_RKT_EUlibE_EEviT1_.kd
    .uniform_work_group_size: 1
    .uses_dynamic_stack: false
    .vgpr_count:     47
    .vgpr_spill_count: 0
    .wavefront_size: 64
  - .agpr_count:     0
    .args:
      - .offset:         0
        .size:           4
        .value_kind:     by_value
      - .offset:         8
        .size:           352
        .value_kind:     by_value
    .group_segment_fixed_size: 0
    .kernarg_segment_align: 8
    .kernarg_segment_size: 360
    .language:       OpenCL C
    .language_version:
      - 2
      - 0
    .max_flat_workgroup_size: 128
    .name:           _ZN2at6native32elementwise_kernel_manual_unrollILi128ELi4EZNS0_15gpu_kernel_implIZZZNS0_12_GLOBAL__N_119airy_ai_kernel_cudaERNS_18TensorIteratorBaseEENKUlvE_clEvENKUlvE_clEvEUldE_EEvS5_RKT_EUlibE0_EEviT1_
    .private_segment_fixed_size: 8
    .sgpr_count:     90
    .sgpr_spill_count: 0
    .symbol:         _ZN2at6native32elementwise_kernel_manual_unrollILi128ELi4EZNS0_15gpu_kernel_implIZZZNS0_12_GLOBAL__N_119airy_ai_kernel_cudaERNS_18TensorIteratorBaseEENKUlvE_clEvENKUlvE_clEvEUldE_EEvS5_RKT_EUlibE0_EEviT1_.kd
    .uniform_work_group_size: 1
    .uses_dynamic_stack: false
    .vgpr_count:     56
    .vgpr_spill_count: 0
    .wavefront_size: 64
  - .agpr_count:     0
    .args:
      - .offset:         0
        .size:           4
        .value_kind:     by_value
      - .offset:         4
        .size:           1
        .value_kind:     by_value
      - .offset:         8
        .size:           16
        .value_kind:     by_value
    .group_segment_fixed_size: 0
    .kernarg_segment_align: 8
    .kernarg_segment_size: 24
    .language:       OpenCL C
    .language_version:
      - 2
      - 0
    .max_flat_workgroup_size: 256
    .name:           _ZN2at6native29vectorized_elementwise_kernelILi16EZZZNS0_12_GLOBAL__N_119airy_ai_kernel_cudaERNS_18TensorIteratorBaseEENKUlvE_clEvENKUlvE0_clEvEUlfE_St5arrayIPcLm2EEEEviT0_T1_
    .private_segment_fixed_size: 0
    .sgpr_count:     46
    .sgpr_spill_count: 0
    .symbol:         _ZN2at6native29vectorized_elementwise_kernelILi16EZZZNS0_12_GLOBAL__N_119airy_ai_kernel_cudaERNS_18TensorIteratorBaseEENKUlvE_clEvENKUlvE0_clEvEUlfE_St5arrayIPcLm2EEEEviT0_T1_.kd
    .uniform_work_group_size: 1
    .uses_dynamic_stack: false
    .vgpr_count:     34
    .vgpr_spill_count: 0
    .wavefront_size: 64
  - .agpr_count:     0
    .args:
      - .offset:         0
        .size:           4
        .value_kind:     by_value
      - .offset:         4
        .size:           1
        .value_kind:     by_value
      - .offset:         8
        .size:           16
        .value_kind:     by_value
    .group_segment_fixed_size: 0
    .kernarg_segment_align: 8
    .kernarg_segment_size: 24
    .language:       OpenCL C
    .language_version:
      - 2
      - 0
    .max_flat_workgroup_size: 256
    .name:           _ZN2at6native29vectorized_elementwise_kernelILi8EZZZNS0_12_GLOBAL__N_119airy_ai_kernel_cudaERNS_18TensorIteratorBaseEENKUlvE_clEvENKUlvE0_clEvEUlfE_St5arrayIPcLm2EEEEviT0_T1_
    .private_segment_fixed_size: 0
    .sgpr_count:     46
    .sgpr_spill_count: 0
    .symbol:         _ZN2at6native29vectorized_elementwise_kernelILi8EZZZNS0_12_GLOBAL__N_119airy_ai_kernel_cudaERNS_18TensorIteratorBaseEENKUlvE_clEvENKUlvE0_clEvEUlfE_St5arrayIPcLm2EEEEviT0_T1_.kd
    .uniform_work_group_size: 1
    .uses_dynamic_stack: false
    .vgpr_count:     34
    .vgpr_spill_count: 0
    .wavefront_size: 64
  - .agpr_count:     0
    .args:
      - .offset:         0
        .size:           4
        .value_kind:     by_value
      - .offset:         4
        .size:           1
        .value_kind:     by_value
      - .offset:         8
        .size:           16
        .value_kind:     by_value
    .group_segment_fixed_size: 0
    .kernarg_segment_align: 8
    .kernarg_segment_size: 24
    .language:       OpenCL C
    .language_version:
      - 2
      - 0
    .max_flat_workgroup_size: 256
    .name:           _ZN2at6native29vectorized_elementwise_kernelILi4EZZZNS0_12_GLOBAL__N_119airy_ai_kernel_cudaERNS_18TensorIteratorBaseEENKUlvE_clEvENKUlvE0_clEvEUlfE_St5arrayIPcLm2EEEEviT0_T1_
    .private_segment_fixed_size: 0
    .sgpr_count:     46
    .sgpr_spill_count: 0
    .symbol:         _ZN2at6native29vectorized_elementwise_kernelILi4EZZZNS0_12_GLOBAL__N_119airy_ai_kernel_cudaERNS_18TensorIteratorBaseEENKUlvE_clEvENKUlvE0_clEvEUlfE_St5arrayIPcLm2EEEEviT0_T1_.kd
    .uniform_work_group_size: 1
    .uses_dynamic_stack: false
    .vgpr_count:     34
    .vgpr_spill_count: 0
    .wavefront_size: 64
  - .agpr_count:     0
    .args:
      - .offset:         0
        .size:           4
        .value_kind:     by_value
      - .offset:         4
        .size:           1
        .value_kind:     by_value
      - .offset:         8
        .size:           16
        .value_kind:     by_value
    .group_segment_fixed_size: 0
    .kernarg_segment_align: 8
    .kernarg_segment_size: 24
    .language:       OpenCL C
    .language_version:
      - 2
      - 0
    .max_flat_workgroup_size: 256
    .name:           _ZN2at6native29vectorized_elementwise_kernelILi2EZZZNS0_12_GLOBAL__N_119airy_ai_kernel_cudaERNS_18TensorIteratorBaseEENKUlvE_clEvENKUlvE0_clEvEUlfE_St5arrayIPcLm2EEEEviT0_T1_
    .private_segment_fixed_size: 0
    .sgpr_count:     39
    .sgpr_spill_count: 0
    .symbol:         _ZN2at6native29vectorized_elementwise_kernelILi2EZZZNS0_12_GLOBAL__N_119airy_ai_kernel_cudaERNS_18TensorIteratorBaseEENKUlvE_clEvENKUlvE0_clEvEUlfE_St5arrayIPcLm2EEEEviT0_T1_.kd
    .uniform_work_group_size: 1
    .uses_dynamic_stack: false
    .vgpr_count:     34
    .vgpr_spill_count: 0
    .wavefront_size: 64
  - .agpr_count:     0
    .args:
      - .offset:         0
        .size:           4
        .value_kind:     by_value
      - .offset:         4
        .size:           1
        .value_kind:     by_value
      - .offset:         8
        .size:           16
        .value_kind:     by_value
      - .offset:         24
        .size:           1
        .value_kind:     by_value
      - .offset:         25
        .size:           1
        .value_kind:     by_value
      - .offset:         26
        .size:           1
        .value_kind:     by_value
      - .offset:         27
        .size:           1
        .value_kind:     by_value
    .group_segment_fixed_size: 0
    .kernarg_segment_align: 8
    .kernarg_segment_size: 28
    .language:       OpenCL C
    .language_version:
      - 2
      - 0
    .max_flat_workgroup_size: 256
    .name:           _ZN2at6native27unrolled_elementwise_kernelIZZZNS0_12_GLOBAL__N_119airy_ai_kernel_cudaERNS_18TensorIteratorBaseEENKUlvE_clEvENKUlvE0_clEvEUlfE_St5arrayIPcLm2EELi4E23TrivialOffsetCalculatorILi1EjESC_NS0_6memory15LoadWithoutCastENSD_16StoreWithoutCastEEEviT_T0_T2_T3_T4_T5_
    .private_segment_fixed_size: 0
    .sgpr_count:     39
    .sgpr_spill_count: 0
    .symbol:         _ZN2at6native27unrolled_elementwise_kernelIZZZNS0_12_GLOBAL__N_119airy_ai_kernel_cudaERNS_18TensorIteratorBaseEENKUlvE_clEvENKUlvE0_clEvEUlfE_St5arrayIPcLm2EELi4E23TrivialOffsetCalculatorILi1EjESC_NS0_6memory15LoadWithoutCastENSD_16StoreWithoutCastEEEviT_T0_T2_T3_T4_T5_.kd
    .uniform_work_group_size: 1
    .uses_dynamic_stack: false
    .vgpr_count:     34
    .vgpr_spill_count: 0
    .wavefront_size: 64
  - .agpr_count:     0
    .args:
      - .offset:         0
        .size:           4
        .value_kind:     by_value
      - .offset:         8
        .size:           352
        .value_kind:     by_value
    .group_segment_fixed_size: 0
    .kernarg_segment_align: 8
    .kernarg_segment_size: 360
    .language:       OpenCL C
    .language_version:
      - 2
      - 0
    .max_flat_workgroup_size: 128
    .name:           _ZN2at6native32elementwise_kernel_manual_unrollILi128ELi4EZNS0_22gpu_kernel_impl_nocastIZZZNS0_12_GLOBAL__N_119airy_ai_kernel_cudaERNS_18TensorIteratorBaseEENKUlvE_clEvENKUlvE0_clEvEUlfE_EEvS5_RKT_EUlibE_EEviT1_
    .private_segment_fixed_size: 0
    .sgpr_count:     64
    .sgpr_spill_count: 0
    .symbol:         _ZN2at6native32elementwise_kernel_manual_unrollILi128ELi4EZNS0_22gpu_kernel_impl_nocastIZZZNS0_12_GLOBAL__N_119airy_ai_kernel_cudaERNS_18TensorIteratorBaseEENKUlvE_clEvENKUlvE0_clEvEUlfE_EEvS5_RKT_EUlibE_EEviT1_.kd
    .uniform_work_group_size: 1
    .uses_dynamic_stack: false
    .vgpr_count:     30
    .vgpr_spill_count: 0
    .wavefront_size: 64
  - .agpr_count:     0
    .args:
      - .offset:         0
        .size:           4
        .value_kind:     by_value
      - .offset:         8
        .size:           32
        .value_kind:     by_value
    .group_segment_fixed_size: 0
    .kernarg_segment_align: 8
    .kernarg_segment_size: 40
    .language:       OpenCL C
    .language_version:
      - 2
      - 0
    .max_flat_workgroup_size: 128
    .name:           _ZN2at6native32elementwise_kernel_manual_unrollILi128ELi4EZNS0_15gpu_kernel_implIZZZNS0_12_GLOBAL__N_119airy_ai_kernel_cudaERNS_18TensorIteratorBaseEENKUlvE_clEvENKUlvE0_clEvEUlfE_EEvS5_RKT_EUlibE_EEviT1_
    .private_segment_fixed_size: 0
    .sgpr_count:     62
    .sgpr_spill_count: 0
    .symbol:         _ZN2at6native32elementwise_kernel_manual_unrollILi128ELi4EZNS0_15gpu_kernel_implIZZZNS0_12_GLOBAL__N_119airy_ai_kernel_cudaERNS_18TensorIteratorBaseEENKUlvE_clEvENKUlvE0_clEvEUlfE_EEvS5_RKT_EUlibE_EEviT1_.kd
    .uniform_work_group_size: 1
    .uses_dynamic_stack: false
    .vgpr_count:     30
    .vgpr_spill_count: 0
    .wavefront_size: 64
  - .agpr_count:     0
    .args:
      - .offset:         0
        .size:           4
        .value_kind:     by_value
      - .offset:         8
        .size:           352
        .value_kind:     by_value
    .group_segment_fixed_size: 0
    .kernarg_segment_align: 8
    .kernarg_segment_size: 360
    .language:       OpenCL C
    .language_version:
      - 2
      - 0
    .max_flat_workgroup_size: 128
    .name:           _ZN2at6native32elementwise_kernel_manual_unrollILi128ELi4EZNS0_15gpu_kernel_implIZZZNS0_12_GLOBAL__N_119airy_ai_kernel_cudaERNS_18TensorIteratorBaseEENKUlvE_clEvENKUlvE0_clEvEUlfE_EEvS5_RKT_EUlibE0_EEviT1_
    .private_segment_fixed_size: 0
    .sgpr_count:     84
    .sgpr_spill_count: 0
    .symbol:         _ZN2at6native32elementwise_kernel_manual_unrollILi128ELi4EZNS0_15gpu_kernel_implIZZZNS0_12_GLOBAL__N_119airy_ai_kernel_cudaERNS_18TensorIteratorBaseEENKUlvE_clEvENKUlvE0_clEvEUlfE_EEvS5_RKT_EUlibE0_EEviT1_.kd
    .uniform_work_group_size: 1
    .uses_dynamic_stack: false
    .vgpr_count:     40
    .vgpr_spill_count: 0
    .wavefront_size: 64
amdhsa.target:   amdgcn-amd-amdhsa--gfx90a
amdhsa.version:
  - 1
  - 2
...

	.end_amdgpu_metadata
